;; amdgpu-corpus repo=ROCm/rocFFT kind=compiled arch=gfx906 opt=O3
	.text
	.amdgcn_target "amdgcn-amd-amdhsa--gfx906"
	.amdhsa_code_object_version 6
	.protected	fft_rtc_fwd_len546_factors_13_3_7_2_wgs_117_tpt_39_halfLds_dp_op_CI_CI_unitstride_sbrr_R2C_dirReg ; -- Begin function fft_rtc_fwd_len546_factors_13_3_7_2_wgs_117_tpt_39_halfLds_dp_op_CI_CI_unitstride_sbrr_R2C_dirReg
	.globl	fft_rtc_fwd_len546_factors_13_3_7_2_wgs_117_tpt_39_halfLds_dp_op_CI_CI_unitstride_sbrr_R2C_dirReg
	.p2align	8
	.type	fft_rtc_fwd_len546_factors_13_3_7_2_wgs_117_tpt_39_halfLds_dp_op_CI_CI_unitstride_sbrr_R2C_dirReg,@function
fft_rtc_fwd_len546_factors_13_3_7_2_wgs_117_tpt_39_halfLds_dp_op_CI_CI_unitstride_sbrr_R2C_dirReg: ; @fft_rtc_fwd_len546_factors_13_3_7_2_wgs_117_tpt_39_halfLds_dp_op_CI_CI_unitstride_sbrr_R2C_dirReg
; %bb.0:
	s_load_dwordx4 s[8:11], s[4:5], 0x58
	s_load_dwordx4 s[12:15], s[4:5], 0x0
	;; [unrolled: 1-line block ×3, first 2 shown]
	v_mul_u32_u24_e32 v1, 0x691, v0
	v_lshrrev_b32_e32 v1, 16, v1
	v_mad_u64_u32 v[3:4], s[0:1], s6, 3, v[1:2]
	v_mov_b32_e32 v5, 0
	v_mov_b32_e32 v1, 0
	;; [unrolled: 1-line block ×3, first 2 shown]
	s_waitcnt lgkmcnt(0)
	v_cmp_lt_u64_e64 s[0:1], s[14:15], 2
	v_mov_b32_e32 v2, 0
	v_mov_b32_e32 v61, v2
	;; [unrolled: 1-line block ×3, first 2 shown]
	s_and_b64 vcc, exec, s[0:1]
	v_mov_b32_e32 v60, v1
	v_mov_b32_e32 v64, v3
	s_cbranch_vccnz .LBB0_8
; %bb.1:
	s_load_dwordx2 s[0:1], s[4:5], 0x10
	s_add_u32 s2, s18, 8
	s_addc_u32 s3, s19, 0
	s_add_u32 s6, s16, 8
	v_mov_b32_e32 v1, 0
	s_addc_u32 s7, s17, 0
	v_mov_b32_e32 v2, 0
	s_waitcnt lgkmcnt(0)
	s_add_u32 s20, s0, 8
	v_mov_b32_e32 v61, v2
	v_mov_b32_e32 v8, v4
	s_addc_u32 s21, s1, 0
	s_mov_b64 s[22:23], 1
	v_mov_b32_e32 v60, v1
	v_mov_b32_e32 v7, v3
.LBB0_2:                                ; =>This Inner Loop Header: Depth=1
	s_load_dwordx2 s[24:25], s[20:21], 0x0
                                        ; implicit-def: $vgpr64_vgpr65
	s_waitcnt lgkmcnt(0)
	v_or_b32_e32 v6, s25, v8
	v_cmp_ne_u64_e32 vcc, 0, v[5:6]
	s_and_saveexec_b64 s[0:1], vcc
	s_xor_b64 s[26:27], exec, s[0:1]
	s_cbranch_execz .LBB0_4
; %bb.3:                                ;   in Loop: Header=BB0_2 Depth=1
	v_cvt_f32_u32_e32 v4, s24
	v_cvt_f32_u32_e32 v6, s25
	s_sub_u32 s0, 0, s24
	s_subb_u32 s1, 0, s25
	v_mac_f32_e32 v4, 0x4f800000, v6
	v_rcp_f32_e32 v4, v4
	v_mul_f32_e32 v4, 0x5f7ffffc, v4
	v_mul_f32_e32 v6, 0x2f800000, v4
	v_trunc_f32_e32 v6, v6
	v_mac_f32_e32 v4, 0xcf800000, v6
	v_cvt_u32_f32_e32 v6, v6
	v_cvt_u32_f32_e32 v4, v4
	v_mul_lo_u32 v9, s0, v6
	v_mul_hi_u32 v10, s0, v4
	v_mul_lo_u32 v12, s1, v4
	v_mul_lo_u32 v11, s0, v4
	v_add_u32_e32 v9, v10, v9
	v_add_u32_e32 v9, v9, v12
	v_mul_hi_u32 v10, v4, v11
	v_mul_lo_u32 v12, v4, v9
	v_mul_hi_u32 v14, v4, v9
	v_mul_hi_u32 v13, v6, v11
	v_mul_lo_u32 v11, v6, v11
	v_mul_hi_u32 v15, v6, v9
	v_add_co_u32_e32 v10, vcc, v10, v12
	v_addc_co_u32_e32 v12, vcc, 0, v14, vcc
	v_mul_lo_u32 v9, v6, v9
	v_add_co_u32_e32 v10, vcc, v10, v11
	v_addc_co_u32_e32 v10, vcc, v12, v13, vcc
	v_addc_co_u32_e32 v11, vcc, 0, v15, vcc
	v_add_co_u32_e32 v9, vcc, v10, v9
	v_addc_co_u32_e32 v10, vcc, 0, v11, vcc
	v_add_co_u32_e32 v4, vcc, v4, v9
	v_addc_co_u32_e32 v6, vcc, v6, v10, vcc
	v_mul_lo_u32 v9, s0, v6
	v_mul_hi_u32 v10, s0, v4
	v_mul_lo_u32 v11, s1, v4
	v_mul_lo_u32 v12, s0, v4
	v_add_u32_e32 v9, v10, v9
	v_add_u32_e32 v9, v9, v11
	v_mul_lo_u32 v13, v4, v9
	v_mul_hi_u32 v14, v4, v12
	v_mul_hi_u32 v15, v4, v9
	;; [unrolled: 1-line block ×3, first 2 shown]
	v_mul_lo_u32 v12, v6, v12
	v_mul_hi_u32 v10, v6, v9
	v_add_co_u32_e32 v13, vcc, v14, v13
	v_addc_co_u32_e32 v14, vcc, 0, v15, vcc
	v_mul_lo_u32 v9, v6, v9
	v_add_co_u32_e32 v12, vcc, v13, v12
	v_addc_co_u32_e32 v11, vcc, v14, v11, vcc
	v_addc_co_u32_e32 v10, vcc, 0, v10, vcc
	v_add_co_u32_e32 v9, vcc, v11, v9
	v_addc_co_u32_e32 v10, vcc, 0, v10, vcc
	v_add_co_u32_e32 v4, vcc, v4, v9
	v_addc_co_u32_e32 v6, vcc, v6, v10, vcc
	v_mad_u64_u32 v[9:10], s[0:1], v7, v6, 0
	v_mul_hi_u32 v11, v7, v4
	v_add_co_u32_e32 v13, vcc, v11, v9
	v_addc_co_u32_e32 v14, vcc, 0, v10, vcc
	v_mad_u64_u32 v[9:10], s[0:1], v8, v4, 0
	v_mad_u64_u32 v[11:12], s[0:1], v8, v6, 0
	v_add_co_u32_e32 v4, vcc, v13, v9
	v_addc_co_u32_e32 v4, vcc, v14, v10, vcc
	v_addc_co_u32_e32 v6, vcc, 0, v12, vcc
	v_add_co_u32_e32 v4, vcc, v4, v11
	v_addc_co_u32_e32 v6, vcc, 0, v6, vcc
	v_mul_lo_u32 v11, s25, v4
	v_mul_lo_u32 v12, s24, v6
	v_mad_u64_u32 v[9:10], s[0:1], s24, v4, 0
	v_add3_u32 v10, v10, v12, v11
	v_sub_u32_e32 v11, v8, v10
	v_mov_b32_e32 v12, s25
	v_sub_co_u32_e32 v9, vcc, v7, v9
	v_subb_co_u32_e64 v11, s[0:1], v11, v12, vcc
	v_subrev_co_u32_e64 v12, s[0:1], s24, v9
	v_subbrev_co_u32_e64 v11, s[0:1], 0, v11, s[0:1]
	v_cmp_le_u32_e64 s[0:1], s25, v11
	v_cndmask_b32_e64 v13, 0, -1, s[0:1]
	v_cmp_le_u32_e64 s[0:1], s24, v12
	v_cndmask_b32_e64 v12, 0, -1, s[0:1]
	v_cmp_eq_u32_e64 s[0:1], s25, v11
	v_cndmask_b32_e64 v11, v13, v12, s[0:1]
	v_add_co_u32_e64 v12, s[0:1], 2, v4
	v_addc_co_u32_e64 v13, s[0:1], 0, v6, s[0:1]
	v_add_co_u32_e64 v14, s[0:1], 1, v4
	v_addc_co_u32_e64 v15, s[0:1], 0, v6, s[0:1]
	v_subb_co_u32_e32 v10, vcc, v8, v10, vcc
	v_cmp_ne_u32_e64 s[0:1], 0, v11
	v_cmp_le_u32_e32 vcc, s25, v10
	v_cndmask_b32_e64 v11, v15, v13, s[0:1]
	v_cndmask_b32_e64 v13, 0, -1, vcc
	v_cmp_le_u32_e32 vcc, s24, v9
	v_cndmask_b32_e64 v9, 0, -1, vcc
	v_cmp_eq_u32_e32 vcc, s25, v10
	v_cndmask_b32_e32 v9, v13, v9, vcc
	v_cmp_ne_u32_e32 vcc, 0, v9
	v_cndmask_b32_e32 v65, v6, v11, vcc
	v_cndmask_b32_e64 v6, v14, v12, s[0:1]
	v_cndmask_b32_e32 v64, v4, v6, vcc
.LBB0_4:                                ;   in Loop: Header=BB0_2 Depth=1
	s_andn2_saveexec_b64 s[0:1], s[26:27]
	s_cbranch_execz .LBB0_6
; %bb.5:                                ;   in Loop: Header=BB0_2 Depth=1
	v_cvt_f32_u32_e32 v4, s24
	s_sub_i32 s26, 0, s24
	v_mov_b32_e32 v65, v5
	v_rcp_iflag_f32_e32 v4, v4
	v_mul_f32_e32 v4, 0x4f7ffffe, v4
	v_cvt_u32_f32_e32 v4, v4
	v_mul_lo_u32 v6, s26, v4
	v_mul_hi_u32 v6, v4, v6
	v_add_u32_e32 v4, v4, v6
	v_mul_hi_u32 v4, v7, v4
	v_mul_lo_u32 v6, v4, s24
	v_add_u32_e32 v9, 1, v4
	v_sub_u32_e32 v6, v7, v6
	v_subrev_u32_e32 v10, s24, v6
	v_cmp_le_u32_e32 vcc, s24, v6
	v_cndmask_b32_e32 v6, v6, v10, vcc
	v_cndmask_b32_e32 v4, v4, v9, vcc
	v_add_u32_e32 v9, 1, v4
	v_cmp_le_u32_e32 vcc, s24, v6
	v_cndmask_b32_e32 v64, v4, v9, vcc
.LBB0_6:                                ;   in Loop: Header=BB0_2 Depth=1
	s_or_b64 exec, exec, s[0:1]
	v_mul_lo_u32 v4, v65, s24
	v_mul_lo_u32 v6, v64, s25
	v_mad_u64_u32 v[9:10], s[0:1], v64, s24, 0
	s_load_dwordx2 s[0:1], s[6:7], 0x0
	s_load_dwordx2 s[24:25], s[2:3], 0x0
	v_add3_u32 v4, v10, v6, v4
	v_sub_co_u32_e32 v6, vcc, v7, v9
	v_subb_co_u32_e32 v4, vcc, v8, v4, vcc
	s_waitcnt lgkmcnt(0)
	v_mul_lo_u32 v7, s0, v4
	v_mul_lo_u32 v8, s1, v6
	v_mad_u64_u32 v[1:2], s[0:1], s0, v6, v[1:2]
	s_add_u32 s22, s22, 1
	s_addc_u32 s23, s23, 0
	s_add_u32 s2, s2, 8
	v_mul_lo_u32 v4, s24, v4
	v_mul_lo_u32 v9, s25, v6
	v_mad_u64_u32 v[60:61], s[0:1], s24, v6, v[60:61]
	v_add3_u32 v2, v8, v2, v7
	s_addc_u32 s3, s3, 0
	v_mov_b32_e32 v6, s14
	s_add_u32 s6, s6, 8
	v_mov_b32_e32 v7, s15
	s_addc_u32 s7, s7, 0
	v_cmp_ge_u64_e32 vcc, s[22:23], v[6:7]
	s_add_u32 s20, s20, 8
	v_add3_u32 v61, v9, v61, v4
	s_addc_u32 s21, s21, 0
	s_cbranch_vccnz .LBB0_8
; %bb.7:                                ;   in Loop: Header=BB0_2 Depth=1
	v_mov_b32_e32 v7, v64
	v_mov_b32_e32 v8, v65
	s_branch .LBB0_2
.LBB0_8:
	s_mov_b32 s2, 0xaaaaaaab
	s_load_dwordx2 s[0:1], s[4:5], 0x28
	v_mul_hi_u32 v4, v3, s2
	s_lshl_b64 s[6:7], s[14:15], 3
	s_add_u32 s2, s18, s6
	s_addc_u32 s3, s19, s7
	v_lshrrev_b32_e32 v4, 1, v4
	v_lshl_add_u32 v4, v4, 1, v4
	s_waitcnt lgkmcnt(0)
	v_cmp_gt_u64_e32 vcc, s[0:1], v[64:65]
	v_cmp_le_u64_e64 s[0:1], s[0:1], v[64:65]
	v_sub_u32_e32 v3, v3, v4
                                        ; implicit-def: $vgpr62
                                        ; implicit-def: $vgpr66
	s_and_saveexec_b64 s[4:5], s[0:1]
	s_xor_b64 s[0:1], exec, s[4:5]
; %bb.9:
	s_mov_b32 s4, 0x6906907
	v_mul_hi_u32 v1, v0, s4
	v_mul_u32_u24_e32 v1, 39, v1
	v_sub_u32_e32 v62, v0, v1
	v_add_u32_e32 v66, 39, v62
                                        ; implicit-def: $vgpr0
                                        ; implicit-def: $vgpr1_vgpr2
; %bb.10:
	s_or_saveexec_b64 s[4:5], s[0:1]
	v_mul_u32_u24_e32 v131, 0x223, v3
	v_lshlrev_b32_e32 v63, 4, v131
	s_xor_b64 exec, exec, s[4:5]
	s_cbranch_execz .LBB0_12
; %bb.11:
	s_add_u32 s0, s16, s6
	s_addc_u32 s1, s17, s7
	s_load_dwordx2 s[0:1], s[0:1], 0x0
	s_mov_b32 s6, 0x6906907
	v_mul_hi_u32 v5, v0, s6
	s_waitcnt lgkmcnt(0)
	v_mul_lo_u32 v6, s1, v64
	v_mul_lo_u32 v7, s0, v65
	v_mad_u64_u32 v[3:4], s[0:1], s0, v64, 0
	v_mul_u32_u24_e32 v5, 39, v5
	v_sub_u32_e32 v62, v0, v5
	v_add3_u32 v4, v4, v7, v6
	v_lshlrev_b64 v[3:4], 4, v[3:4]
	v_mov_b32_e32 v0, s9
	v_add_co_u32_e64 v3, s[0:1], s8, v3
	v_addc_co_u32_e64 v4, s[0:1], v0, v4, s[0:1]
	v_lshlrev_b64 v[0:1], 4, v[1:2]
	v_lshlrev_b32_e32 v67, 4, v62
	v_add_co_u32_e64 v0, s[0:1], v3, v0
	v_addc_co_u32_e64 v1, s[0:1], v4, v1, s[0:1]
	v_add_co_u32_e64 v56, s[0:1], v0, v67
	v_addc_co_u32_e64 v57, s[0:1], 0, v1, s[0:1]
	s_movk_i32 s0, 0x1000
	v_add_co_u32_e64 v58, s[0:1], s0, v56
	global_load_dwordx4 v[0:3], v[56:57], off
	global_load_dwordx4 v[4:7], v[56:57], off offset:624
	global_load_dwordx4 v[8:11], v[56:57], off offset:1248
	;; [unrolled: 1-line block ×5, first 2 shown]
	v_addc_co_u32_e64 v59, s[0:1], 0, v57, s[0:1]
	global_load_dwordx4 v[24:27], v[56:57], off offset:3744
	global_load_dwordx4 v[28:31], v[58:59], off offset:272
	;; [unrolled: 1-line block ×8, first 2 shown]
	v_add_u32_e32 v66, 39, v62
	v_add3_u32 v56, 0, v63, v67
	s_waitcnt vmcnt(13)
	ds_write_b128 v56, v[0:3]
	s_waitcnt vmcnt(12)
	ds_write_b128 v56, v[4:7] offset:624
	s_waitcnt vmcnt(11)
	ds_write_b128 v56, v[8:11] offset:1248
	;; [unrolled: 2-line block ×13, first 2 shown]
.LBB0_12:
	s_or_b64 exec, exec, s[4:5]
	v_lshlrev_b32_e32 v129, 4, v62
	v_add_u32_e32 v132, 0, v129
	v_add_u32_e32 v127, 0, v63
	;; [unrolled: 1-line block ×3, first 2 shown]
	s_load_dwordx2 s[2:3], s[2:3], 0x0
	s_waitcnt lgkmcnt(0)
	s_barrier
	v_add_u32_e32 v128, v127, v129
	ds_read_b128 v[4:7], v130 offset:672
	ds_read_b128 v[8:11], v128
	ds_read_b128 v[0:3], v130 offset:624
	ds_read_b128 v[20:23], v130 offset:1296
	;; [unrolled: 1-line block ×4, first 2 shown]
	s_mov_b32 s26, 0x4267c47c
	s_waitcnt lgkmcnt(4)
	v_add_f64 v[26:27], v[8:9], v[4:5]
	v_add_f64 v[24:25], v[10:11], v[6:7]
	s_waitcnt lgkmcnt(2)
	v_add_f64 v[28:29], v[0:1], v[20:21]
	v_add_f64 v[36:37], v[2:3], v[22:23]
	s_mov_b32 s24, 0x42a4c3d2
	s_mov_b32 s28, 0x66966769
	;; [unrolled: 1-line block ×4, first 2 shown]
	s_waitcnt lgkmcnt(1)
	v_add_f64 v[30:31], v[26:27], v[16:17]
	v_add_f64 v[38:39], v[24:25], v[18:19]
	ds_read_b128 v[24:27], v130 offset:2016
	ds_read_b128 v[32:35], v130 offset:2640
	s_waitcnt lgkmcnt(2)
	v_add_f64 v[44:45], v[28:29], v[12:13]
	v_add_f64 v[48:49], v[36:37], v[14:15]
	s_mov_b32 s16, 0x4bc48dbf
	s_mov_b32 s27, 0xbfddbe06
	;; [unrolled: 1-line block ×3, first 2 shown]
	s_waitcnt lgkmcnt(1)
	v_add_f64 v[46:47], v[30:31], v[24:25]
	v_add_f64 v[50:51], v[38:39], v[26:27]
	ds_read_b128 v[28:31], v130 offset:2688
	ds_read_b128 v[36:39], v130 offset:3312
	;; [unrolled: 1-line block ×4, first 2 shown]
	s_waitcnt lgkmcnt(4)
	v_add_f64 v[52:53], v[44:45], v[32:33]
	v_add_f64 v[56:57], v[48:49], v[34:35]
	s_mov_b32 s29, 0xbfefc445
	s_mov_b32 s15, 0xbfedeba7
	;; [unrolled: 1-line block ×3, first 2 shown]
	s_waitcnt lgkmcnt(3)
	v_add_f64 v[54:55], v[46:47], v[28:29]
	v_add_f64 v[58:59], v[50:51], v[30:31]
	ds_read_b128 v[44:47], v130 offset:4032
	ds_read_b128 v[119:122], v130 offset:4656
	;; [unrolled: 1-line block ×4, first 2 shown]
	s_waitcnt lgkmcnt(6)
	v_add_f64 v[67:68], v[52:53], v[36:37]
	v_add_f64 v[79:80], v[56:57], v[38:39]
	s_mov_b32 s17, 0xbfcea1e5
	s_waitcnt lgkmcnt(1)
	v_add_f64 v[93:94], v[44:45], -v[48:49]
	v_add_f64 v[95:96], v[46:47], -v[50:51]
	v_add_f64 v[77:78], v[54:55], v[40:41]
	v_add_f64 v[81:82], v[58:59], v[42:43]
	ds_read_b128 v[52:55], v130 offset:5376
	ds_read_b128 v[133:136], v130 offset:6000
	;; [unrolled: 1-line block ×4, first 2 shown]
	v_add_f64 v[67:68], v[67:68], v[73:74]
	v_add_f64 v[83:84], v[79:80], v[75:76]
	;; [unrolled: 1-line block ×3, first 2 shown]
	s_waitcnt lgkmcnt(3)
	v_add_f64 v[87:88], v[40:41], -v[52:53]
	v_add_f64 v[103:104], v[42:43], -v[54:55]
	v_add_f64 v[77:78], v[77:78], v[44:45]
	v_add_f64 v[85:86], v[81:82], v[46:47]
	v_add_f64 v[81:82], v[46:47], v[50:51]
	v_add_f64 v[44:45], v[67:68], v[119:120]
	s_waitcnt lgkmcnt(1)
	v_add_f64 v[89:90], v[28:29], v[56:57]
	v_add_f64 v[91:92], v[30:31], v[58:59]
	v_add_f64 v[107:108], v[28:29], -v[56:57]
	v_add_f64 v[109:110], v[30:31], -v[58:59]
	v_add_f64 v[46:47], v[77:78], v[48:49]
	v_add_f64 v[48:49], v[83:84], v[121:122]
	;; [unrolled: 1-line block ×6, first 2 shown]
	ds_read_b128 v[28:31], v130 offset:6720
	s_waitcnt lgkmcnt(1)
	v_add_f64 v[67:68], v[38:39], v[71:72]
	v_add_f64 v[42:43], v[46:47], v[52:53]
	v_add_f64 v[44:45], v[48:49], v[125:126]
	v_add_f64 v[46:47], v[50:51], v[54:55]
	s_mov_b32 s4, 0xe00740e9
	v_add_f64 v[48:49], v[40:41], v[133:134]
	s_mov_b32 s22, 0x1ea71119
	s_mov_b32 s6, 0xebaa3ed8
	;; [unrolled: 1-line block ×3, first 2 shown]
	v_add_f64 v[50:51], v[42:43], v[56:57]
	ds_read_b128 v[40:43], v130 offset:7344
	v_add_f64 v[44:45], v[44:45], v[135:136]
	v_add_f64 v[52:53], v[46:47], v[58:59]
	s_waitcnt lgkmcnt(1)
	v_add_f64 v[101:102], v[24:25], v[28:29]
	v_add_f64 v[111:112], v[24:25], -v[28:29]
	v_add_f64 v[24:25], v[48:49], v[69:70]
	v_add_f64 v[105:106], v[26:27], v[30:31]
	v_add_f64 v[113:114], v[26:27], -v[30:31]
	v_add_f64 v[26:27], v[50:51], v[28:29]
	v_add_f64 v[48:49], v[44:45], v[71:72]
	ds_read_b128 v[44:47], v130 offset:7392
	v_add_f64 v[50:51], v[52:53], v[30:31]
	ds_read_b128 v[28:31], v130 offset:8016
	s_waitcnt lgkmcnt(2)
	v_add_f64 v[24:25], v[24:25], v[40:41]
	v_add_f64 v[56:57], v[34:35], v[42:43]
	s_waitcnt lgkmcnt(1)
	v_add_f64 v[97:98], v[16:17], v[44:45]
	v_add_f64 v[99:100], v[18:19], v[46:47]
	;; [unrolled: 1-line block ×3, first 2 shown]
	v_add_f64 v[115:116], v[16:17], -v[44:45]
	v_add_f64 v[117:118], v[18:19], -v[46:47]
	ds_read_b128 v[16:19], v130 offset:8064
	v_add_f64 v[44:45], v[26:27], v[44:45]
	v_add_f64 v[46:47], v[50:51], v[46:47]
	s_waitcnt lgkmcnt(1)
	v_add_f64 v[50:51], v[24:25], v[28:29]
	ds_read_b128 v[24:27], v130 offset:8688
	v_add_f64 v[48:49], v[48:49], v[30:31]
	s_waitcnt lgkmcnt(1)
	v_add_f64 v[143:144], v[6:7], -v[18:19]
	v_add_f64 v[137:138], v[4:5], v[16:17]
	v_add_f64 v[139:140], v[6:7], v[18:19]
	v_add_f64 v[141:142], v[4:5], -v[16:17]
	v_add_f64 v[16:17], v[44:45], v[16:17]
	v_add_f64 v[18:19], v[46:47], v[18:19]
	s_waitcnt lgkmcnt(0)
	v_add_f64 v[4:5], v[50:51], v[24:25]
	v_add_f64 v[6:7], v[48:49], v[26:27]
	;; [unrolled: 1-line block ×4, first 2 shown]
	v_add_f64 v[46:47], v[20:21], -v[24:25]
	v_add_f64 v[48:49], v[22:23], -v[26:27]
	v_add_f64 v[24:25], v[12:13], v[28:29]
	v_add_f64 v[52:53], v[14:15], v[30:31]
	v_add_f64 v[28:29], v[12:13], -v[28:29]
	v_add_f64 v[50:51], v[14:15], -v[30:31]
	v_add_f64 v[26:27], v[32:33], v[40:41]
	v_add_f64 v[32:33], v[32:33], -v[40:41]
	v_add_f64 v[54:55], v[34:35], -v[42:43]
	;; [unrolled: 3-line block ×3, first 2 shown]
	v_add_f64 v[34:35], v[73:74], v[133:134]
	v_add_f64 v[71:72], v[75:76], v[135:136]
	v_add_f64 v[40:41], v[73:74], -v[133:134]
	v_add_f64 v[69:70], v[75:76], -v[135:136]
	v_add_f64 v[38:39], v[119:120], v[123:124]
	v_add_f64 v[73:74], v[121:122], v[125:126]
	v_mul_f64 v[12:13], v[143:144], s[26:27]
	v_add_f64 v[42:43], v[119:120], -v[123:124]
	v_add_f64 v[75:76], v[121:122], -v[125:126]
	v_mul_f64 v[14:15], v[143:144], s[24:25]
	v_mul_f64 v[22:23], v[143:144], s[28:29]
	;; [unrolled: 1-line block ×5, first 2 shown]
	s_mov_b32 s8, 0xd0032e0c
	s_mov_b32 s20, 0x93053d00
	;; [unrolled: 1-line block ×8, first 2 shown]
	v_fma_f64 v[20:21], v[137:138], s[4:5], -v[12:13]
	v_fma_f64 v[12:13], v[137:138], s[4:5], v[12:13]
	v_fma_f64 v[119:120], v[137:138], s[22:23], -v[14:15]
	v_fma_f64 v[14:15], v[137:138], s[22:23], v[14:15]
	;; [unrolled: 2-line block ×4, first 2 shown]
	v_fma_f64 v[143:144], v[137:138], s[8:9], -v[125:126]
	v_mul_f64 v[145:146], v[141:142], s[26:27]
	v_fma_f64 v[125:126], v[137:138], s[8:9], v[125:126]
	v_fma_f64 v[147:148], v[137:138], s[20:21], -v[133:134]
	v_mul_f64 v[149:150], v[141:142], s[24:25]
	v_fma_f64 v[133:134], v[137:138], s[20:21], v[133:134]
	v_mul_f64 v[137:138], v[141:142], s[28:29]
	v_mul_f64 v[153:154], v[141:142], s[14:15]
	;; [unrolled: 1-line block ×4, first 2 shown]
	v_fma_f64 v[151:152], v[139:140], s[4:5], v[145:146]
	v_fma_f64 v[145:146], v[139:140], s[4:5], -v[145:146]
	v_fma_f64 v[157:158], v[139:140], s[22:23], v[149:150]
	v_fma_f64 v[149:150], v[139:140], s[22:23], -v[149:150]
	;; [unrolled: 2-line block ×6, first 2 shown]
	v_mul_f64 v[141:142], v[117:118], s[24:25]
	v_mul_f64 v[167:168], v[115:116], s[24:25]
	v_add_f64 v[20:21], v[8:9], v[20:21]
	v_add_f64 v[151:152], v[10:11], v[151:152]
	v_mul_f64 v[173:174], v[113:114], s[28:29]
	v_mul_f64 v[175:176], v[111:112], s[28:29]
	;; [unrolled: 1-line block ×4, first 2 shown]
	v_fma_f64 v[169:170], v[97:98], s[22:23], -v[141:142]
	v_fma_f64 v[171:172], v[99:100], s[22:23], v[167:168]
	v_add_f64 v[181:182], v[8:9], v[22:23]
	v_mul_f64 v[183:184], v[87:88], s[30:31]
	v_add_f64 v[12:13], v[8:9], v[12:13]
	v_add_f64 v[145:146], v[10:11], v[145:146]
	;; [unrolled: 1-line block ×6, first 2 shown]
	v_fma_f64 v[169:170], v[101:102], s[6:7], -v[173:174]
	v_fma_f64 v[171:172], v[105:106], s[6:7], v[175:176]
	v_mul_f64 v[193:194], v[113:114], s[16:17]
	v_mul_f64 v[195:196], v[111:112], s[16:17]
	s_mov_b32 s35, 0x3fe5384d
	s_mov_b32 s34, s30
	v_add_f64 v[185:186], v[8:9], v[123:124]
	s_mov_b32 s37, 0x3fefc445
	v_add_f64 v[20:21], v[169:170], v[20:21]
	v_add_f64 v[22:23], v[171:172], v[151:152]
	v_fma_f64 v[151:152], v[89:90], s[18:19], -v[177:178]
	v_fma_f64 v[169:170], v[91:92], s[18:19], v[179:180]
	v_mul_f64 v[171:172], v[103:104], s[30:31]
	s_mov_b32 s36, s28
	v_add_f64 v[187:188], v[8:9], v[147:148]
	v_mul_f64 v[147:148], v[93:94], s[16:17]
	v_add_f64 v[14:15], v[8:9], v[14:15]
	v_add_f64 v[149:150], v[10:11], v[149:150]
	;; [unrolled: 1-line block ×4, first 2 shown]
	v_fma_f64 v[151:152], v[85:86], s[8:9], v[183:184]
	v_add_f64 v[169:170], v[8:9], v[125:126]
	v_fma_f64 v[125:126], v[97:98], s[22:23], v[141:142]
	v_fma_f64 v[141:142], v[99:100], s[22:23], -v[167:168]
	v_mul_f64 v[167:168], v[115:116], s[14:15]
	v_fma_f64 v[123:124], v[83:84], s[8:9], -v[171:172]
	v_add_f64 v[121:122], v[8:9], v[121:122]
	v_add_f64 v[159:160], v[10:11], v[159:160]
	;; [unrolled: 1-line block ×3, first 2 shown]
	v_mul_f64 v[151:152], v[117:118], s[14:15]
	v_add_f64 v[12:13], v[125:126], v[12:13]
	v_add_f64 v[125:126], v[141:142], v[145:146]
	v_fma_f64 v[141:142], v[101:102], s[6:7], v[173:174]
	v_fma_f64 v[145:146], v[105:106], s[6:7], -v[175:176]
	v_fma_f64 v[191:192], v[99:100], s[18:19], v[167:168]
	v_add_f64 v[20:21], v[123:124], v[20:21]
	v_mul_f64 v[123:124], v[95:96], s[16:17]
	v_fma_f64 v[189:190], v[97:98], s[18:19], -v[151:152]
	v_fma_f64 v[175:176], v[81:82], s[20:21], v[147:148]
	v_add_f64 v[137:138], v[10:11], v[137:138]
	v_add_f64 v[12:13], v[141:142], v[12:13]
	;; [unrolled: 1-line block ×3, first 2 shown]
	v_fma_f64 v[141:142], v[89:90], s[18:19], v[177:178]
	v_fma_f64 v[145:146], v[91:92], s[18:19], -v[179:180]
	v_add_f64 v[157:158], v[191:192], v[157:158]
	v_add_f64 v[119:120], v[189:190], v[119:120]
	v_fma_f64 v[177:178], v[101:102], s[20:21], -v[193:194]
	v_fma_f64 v[179:180], v[105:106], s[20:21], v[195:196]
	v_mul_f64 v[189:190], v[109:110], s[34:35]
	v_mul_f64 v[191:192], v[107:108], s[34:35]
	v_add_f64 v[12:13], v[141:142], v[12:13]
	v_add_f64 v[125:126], v[145:146], v[125:126]
	v_fma_f64 v[141:142], v[83:84], s[8:9], v[171:172]
	v_fma_f64 v[145:146], v[85:86], s[8:9], -v[183:184]
	v_add_f64 v[119:120], v[177:178], v[119:120]
	v_add_f64 v[157:158], v[179:180], v[157:158]
	v_fma_f64 v[171:172], v[89:90], s[8:9], -v[189:190]
	v_mul_f64 v[179:180], v[103:104], s[36:37]
	v_fma_f64 v[173:174], v[79:80], s[20:21], -v[123:124]
	v_fma_f64 v[177:178], v[91:92], s[8:9], v[191:192]
	v_mul_f64 v[183:184], v[87:88], s[36:37]
	v_add_f64 v[12:13], v[141:142], v[12:13]
	v_add_f64 v[125:126], v[145:146], v[125:126]
	v_fma_f64 v[123:124], v[79:80], s[20:21], v[123:124]
	v_fma_f64 v[141:142], v[81:82], s[20:21], -v[147:148]
	v_add_f64 v[119:120], v[171:172], v[119:120]
	v_fma_f64 v[147:148], v[83:84], s[6:7], -v[179:180]
	v_add_f64 v[135:136], v[8:9], v[135:136]
	v_add_f64 v[161:162], v[10:11], v[161:162]
	;; [unrolled: 1-line block ×8, first 2 shown]
	v_fma_f64 v[157:158], v[85:86], s[6:7], v[183:184]
	v_add_f64 v[171:172], v[8:9], v[133:134]
	v_add_f64 v[177:178], v[10:11], v[139:140]
	;; [unrolled: 1-line block ×5, first 2 shown]
	v_fma_f64 v[119:120], v[97:98], s[18:19], v[151:152]
	v_fma_f64 v[125:126], v[99:100], s[18:19], -v[167:168]
	v_mul_f64 v[133:134], v[117:118], s[16:17]
	v_mul_f64 v[139:140], v[115:116], s[16:17]
	s_mov_b32 s41, 0x3fedeba7
	s_mov_b32 s40, s14
	v_add_f64 v[123:124], v[157:158], v[145:146]
	v_fma_f64 v[147:148], v[105:106], s[20:21], -v[195:196]
	v_add_f64 v[14:15], v[119:120], v[14:15]
	v_add_f64 v[119:120], v[125:126], v[149:150]
	v_fma_f64 v[125:126], v[101:102], s[20:21], v[193:194]
	v_fma_f64 v[149:150], v[97:98], s[20:21], -v[133:134]
	v_fma_f64 v[151:152], v[99:100], s[20:21], v[139:140]
	v_mul_f64 v[157:158], v[113:114], s[40:41]
	v_mul_f64 v[167:168], v[111:112], s[40:41]
	s_mov_b32 s39, 0x3fddbe06
	s_mov_b32 s38, s26
	v_add_f64 v[20:21], v[173:174], v[20:21]
	v_add_f64 v[22:23], v[175:176], v[22:23]
	v_mul_f64 v[141:142], v[95:96], s[38:39]
	v_mul_f64 v[145:146], v[93:94], s[38:39]
	v_add_f64 v[14:15], v[125:126], v[14:15]
	v_add_f64 v[119:120], v[147:148], v[119:120]
	v_fma_f64 v[125:126], v[89:90], s[8:9], v[189:190]
	v_fma_f64 v[147:148], v[91:92], s[8:9], -v[191:192]
	v_add_f64 v[121:122], v[149:150], v[121:122]
	v_add_f64 v[149:150], v[151:152], v[159:160]
	v_fma_f64 v[151:152], v[101:102], s[18:19], -v[157:158]
	v_fma_f64 v[159:160], v[105:106], s[18:19], v[167:168]
	v_mul_f64 v[173:174], v[109:110], s[38:39]
	v_mul_f64 v[175:176], v[107:108], s[38:39]
	v_fma_f64 v[189:190], v[79:80], s[4:5], -v[141:142]
	v_fma_f64 v[191:192], v[81:82], s[4:5], v[145:146]
	v_add_f64 v[14:15], v[125:126], v[14:15]
	v_add_f64 v[125:126], v[147:148], v[119:120]
	;; [unrolled: 1-line block ×4, first 2 shown]
	v_fma_f64 v[151:152], v[89:90], s[4:5], -v[173:174]
	v_fma_f64 v[159:160], v[91:92], s[4:5], v[175:176]
	v_fma_f64 v[183:184], v[85:86], s[6:7], -v[183:184]
	v_add_f64 v[119:120], v[189:190], v[12:13]
	v_add_f64 v[121:122], v[191:192], v[123:124]
	v_fma_f64 v[133:134], v[97:98], s[20:21], v[133:134]
	v_fma_f64 v[139:140], v[99:100], s[20:21], -v[139:140]
	v_mul_f64 v[193:194], v[103:104], s[24:25]
	v_add_f64 v[12:13], v[151:152], v[147:148]
	v_add_f64 v[123:124], v[159:160], v[149:150]
	v_mul_f64 v[151:152], v[117:118], s[34:35]
	v_mul_f64 v[159:160], v[115:116], s[34:35]
	;; [unrolled: 1-line block ×3, first 2 shown]
	v_add_f64 v[125:126], v[183:184], v[125:126]
	v_add_f64 v[133:134], v[133:134], v[181:182]
	;; [unrolled: 1-line block ×3, first 2 shown]
	v_fma_f64 v[139:140], v[101:102], s[18:19], v[157:158]
	v_fma_f64 v[157:158], v[105:106], s[18:19], -v[167:168]
	v_fma_f64 v[181:182], v[97:98], s[8:9], -v[151:152]
	v_fma_f64 v[183:184], v[99:100], s[8:9], v[159:160]
	v_mul_f64 v[189:190], v[113:114], s[38:39]
	v_mul_f64 v[191:192], v[111:112], s[38:39]
	v_fma_f64 v[179:180], v[83:84], s[6:7], v[179:180]
	v_fma_f64 v[147:148], v[83:84], s[22:23], -v[193:194]
	v_fma_f64 v[149:150], v[85:86], s[22:23], v[195:196]
	v_add_f64 v[133:134], v[139:140], v[133:134]
	v_add_f64 v[137:138], v[157:158], v[137:138]
	v_fma_f64 v[139:140], v[89:90], s[4:5], v[173:174]
	v_fma_f64 v[157:158], v[91:92], s[4:5], -v[175:176]
	v_add_f64 v[135:136], v[181:182], v[135:136]
	v_add_f64 v[161:162], v[183:184], v[161:162]
	v_fma_f64 v[173:174], v[101:102], s[4:5], -v[189:190]
	v_fma_f64 v[175:176], v[105:106], s[4:5], v[191:192]
	v_mul_f64 v[181:182], v[109:110], s[28:29]
	v_mul_f64 v[183:184], v[107:108], s[28:29]
	s_mov_b32 s43, 0x3fcea1e5
	s_mov_b32 s42, s16
	v_add_f64 v[14:15], v[179:180], v[14:15]
	v_fma_f64 v[141:142], v[79:80], s[4:5], v[141:142]
	v_fma_f64 v[145:146], v[81:82], s[4:5], -v[145:146]
	v_add_f64 v[12:13], v[147:148], v[12:13]
	v_add_f64 v[147:148], v[149:150], v[123:124]
	v_mul_f64 v[123:124], v[95:96], s[30:31]
	v_mul_f64 v[149:150], v[93:94], s[30:31]
	v_add_f64 v[133:134], v[139:140], v[133:134]
	v_add_f64 v[137:138], v[157:158], v[137:138]
	v_fma_f64 v[139:140], v[83:84], s[22:23], v[193:194]
	v_fma_f64 v[157:158], v[85:86], s[22:23], -v[195:196]
	v_add_f64 v[135:136], v[173:174], v[135:136]
	v_add_f64 v[161:162], v[175:176], v[161:162]
	v_fma_f64 v[173:174], v[89:90], s[6:7], -v[181:182]
	v_fma_f64 v[175:176], v[91:92], s[6:7], v[183:184]
	v_mul_f64 v[193:194], v[103:104], s[42:43]
	v_fma_f64 v[167:168], v[79:80], s[8:9], -v[123:124]
	v_fma_f64 v[179:180], v[81:82], s[8:9], v[149:150]
	v_add_f64 v[139:140], v[139:140], v[133:134]
	v_add_f64 v[157:158], v[157:158], v[137:138]
	v_fma_f64 v[137:138], v[79:80], s[8:9], v[123:124]
	v_fma_f64 v[149:150], v[81:82], s[8:9], -v[149:150]
	v_add_f64 v[173:174], v[173:174], v[135:136]
	v_add_f64 v[161:162], v[175:176], v[161:162]
	v_fma_f64 v[175:176], v[83:84], s[20:21], -v[193:194]
	v_add_f64 v[123:124], v[141:142], v[14:15]
	v_add_f64 v[125:126], v[145:146], v[125:126]
	v_fma_f64 v[141:142], v[97:98], s[8:9], v[151:152]
	v_fma_f64 v[145:146], v[99:100], s[8:9], -v[159:160]
	v_mul_f64 v[151:152], v[117:118], s[36:37]
	v_mul_f64 v[195:196], v[87:88], s[42:43]
	v_add_f64 v[133:134], v[167:168], v[12:13]
	v_add_f64 v[135:136], v[179:180], v[147:148]
	;; [unrolled: 1-line block ×5, first 2 shown]
	v_mul_f64 v[157:158], v[115:116], s[36:37]
	v_add_f64 v[141:142], v[141:142], v[185:186]
	v_add_f64 v[145:146], v[145:146], v[153:154]
	v_fma_f64 v[153:154], v[101:102], s[4:5], v[189:190]
	v_fma_f64 v[159:160], v[105:106], s[4:5], -v[191:192]
	v_fma_f64 v[173:174], v[97:98], s[6:7], -v[151:152]
	v_mul_f64 v[179:180], v[113:114], s[24:25]
	s_mov_b32 s45, 0x3fea55e2
	s_mov_b32 s44, s24
	v_fma_f64 v[197:198], v[85:86], s[20:21], v[195:196]
	v_mul_f64 v[147:148], v[95:96], s[44:45]
	v_mul_f64 v[149:150], v[93:94], s[44:45]
	v_fma_f64 v[175:176], v[99:100], s[6:7], v[157:158]
	v_mul_f64 v[185:186], v[111:112], s[24:25]
	v_add_f64 v[141:142], v[153:154], v[141:142]
	v_add_f64 v[145:146], v[159:160], v[145:146]
	v_fma_f64 v[153:154], v[89:90], s[6:7], v[181:182]
	v_fma_f64 v[159:160], v[91:92], s[6:7], -v[183:184]
	v_add_f64 v[143:144], v[173:174], v[143:144]
	v_fma_f64 v[173:174], v[101:102], s[22:23], -v[179:180]
	v_mul_f64 v[181:182], v[109:110], s[42:43]
	v_add_f64 v[14:15], v[197:198], v[161:162]
	v_fma_f64 v[161:162], v[79:80], s[22:23], -v[147:148]
	v_fma_f64 v[167:168], v[81:82], s[22:23], v[149:150]
	v_add_f64 v[163:164], v[175:176], v[163:164]
	v_fma_f64 v[175:176], v[105:106], s[22:23], v[185:186]
	v_mul_f64 v[183:184], v[107:108], s[42:43]
	v_add_f64 v[141:142], v[153:154], v[141:142]
	v_add_f64 v[145:146], v[159:160], v[145:146]
	v_fma_f64 v[153:154], v[83:84], s[20:21], v[193:194]
	v_fma_f64 v[159:160], v[85:86], s[20:21], -v[195:196]
	v_add_f64 v[143:144], v[173:174], v[143:144]
	v_fma_f64 v[173:174], v[89:90], s[20:21], -v[181:182]
	v_add_f64 v[163:164], v[175:176], v[163:164]
	v_fma_f64 v[175:176], v[91:92], s[20:21], v[183:184]
	v_mul_f64 v[189:190], v[103:104], s[38:39]
	v_mul_f64 v[191:192], v[87:88], s[38:39]
	v_add_f64 v[153:154], v[153:154], v[141:142]
	v_add_f64 v[159:160], v[159:160], v[145:146]
	v_fma_f64 v[145:146], v[79:80], s[22:23], v[147:148]
	v_fma_f64 v[147:148], v[81:82], s[22:23], -v[149:150]
	v_add_f64 v[149:150], v[173:174], v[143:144]
	v_add_f64 v[141:142], v[161:162], v[12:13]
	;; [unrolled: 1-line block ×3, first 2 shown]
	v_fma_f64 v[12:13], v[97:98], s[6:7], v[151:152]
	v_fma_f64 v[14:15], v[99:100], s[6:7], -v[157:158]
	v_mul_f64 v[117:118], v[117:118], s[38:39]
	v_mul_f64 v[115:116], v[115:116], s[38:39]
	v_add_f64 v[163:164], v[175:176], v[163:164]
	v_fma_f64 v[173:174], v[83:84], s[4:5], -v[189:190]
	v_fma_f64 v[175:176], v[85:86], s[4:5], v[191:192]
	v_add_f64 v[147:148], v[147:148], v[159:160]
	v_add_f64 v[12:13], v[12:13], v[169:170]
	;; [unrolled: 1-line block ×3, first 2 shown]
	v_fma_f64 v[155:156], v[101:102], s[22:23], v[179:180]
	v_fma_f64 v[159:160], v[105:106], s[22:23], -v[185:186]
	v_fma_f64 v[167:168], v[97:98], s[4:5], -v[117:118]
	v_fma_f64 v[169:170], v[99:100], s[4:5], v[115:116]
	v_mul_f64 v[113:114], v[113:114], s[30:31]
	v_mul_f64 v[111:112], v[111:112], s[30:31]
	v_add_f64 v[145:146], v[145:146], v[153:154]
	v_add_f64 v[149:150], v[173:174], v[149:150]
	;; [unrolled: 1-line block ×3, first 2 shown]
	v_mul_f64 v[153:154], v[95:96], s[14:15]
	v_mul_f64 v[157:158], v[93:94], s[14:15]
	v_add_f64 v[12:13], v[155:156], v[12:13]
	v_add_f64 v[14:15], v[159:160], v[14:15]
	v_fma_f64 v[155:156], v[89:90], s[20:21], v[181:182]
	v_fma_f64 v[159:160], v[91:92], s[20:21], -v[183:184]
	v_add_f64 v[167:168], v[167:168], v[187:188]
	v_add_f64 v[165:166], v[169:170], v[165:166]
	v_fma_f64 v[169:170], v[101:102], s[8:9], -v[113:114]
	v_fma_f64 v[173:174], v[105:106], s[8:9], v[111:112]
	v_mul_f64 v[175:176], v[109:110], s[44:45]
	v_mul_f64 v[179:180], v[107:108], s[44:45]
	v_fma_f64 v[161:162], v[79:80], s[18:19], -v[153:154]
	v_fma_f64 v[163:164], v[81:82], s[18:19], v[157:158]
	v_add_f64 v[12:13], v[155:156], v[12:13]
	v_add_f64 v[14:15], v[159:160], v[14:15]
	v_fma_f64 v[155:156], v[83:84], s[4:5], v[189:190]
	v_fma_f64 v[159:160], v[85:86], s[4:5], -v[191:192]
	v_add_f64 v[167:168], v[169:170], v[167:168]
	v_add_f64 v[165:166], v[173:174], v[165:166]
	v_fma_f64 v[169:170], v[89:90], s[22:23], -v[175:176]
	v_fma_f64 v[173:174], v[91:92], s[22:23], v[179:180]
	v_mul_f64 v[181:182], v[103:104], s[14:15]
	v_mul_f64 v[183:184], v[87:88], s[14:15]
	v_add_f64 v[107:108], v[161:162], v[149:150]
	v_add_f64 v[109:110], v[163:164], v[151:152]
	;; [unrolled: 1-line block ×6, first 2 shown]
	v_fma_f64 v[155:156], v[83:84], s[18:19], -v[181:182]
	v_fma_f64 v[159:160], v[85:86], s[18:19], v[183:184]
	v_mul_f64 v[87:88], v[48:49], s[26:27]
	v_mul_f64 v[103:104], v[77:78], s[4:5]
	;; [unrolled: 1-line block ×6, first 2 shown]
	v_add_f64 v[149:150], v[155:156], v[149:150]
	v_add_f64 v[151:152], v[159:160], v[151:152]
	v_fma_f64 v[155:156], v[44:45], s[4:5], -v[87:88]
	v_fma_f64 v[159:160], v[46:47], s[26:27], v[103:104]
	v_fma_f64 v[117:118], v[97:98], s[4:5], v[117:118]
	v_fma_f64 v[115:116], v[99:100], s[4:5], -v[115:116]
	v_fma_f64 v[169:170], v[24:25], s[22:23], -v[93:94]
	v_fma_f64 v[173:174], v[28:29], s[24:25], v[95:96]
	v_mul_f64 v[97:98], v[54:55], s[28:29]
	v_mul_f64 v[99:100], v[56:57], s[6:7]
	v_add_f64 v[155:156], v[0:1], v[155:156]
	v_add_f64 v[159:160], v[2:3], v[159:160]
	;; [unrolled: 1-line block ×4, first 2 shown]
	v_fma_f64 v[113:114], v[101:102], s[8:9], v[113:114]
	v_fma_f64 v[111:112], v[105:106], s[8:9], -v[111:112]
	v_mul_f64 v[101:102], v[58:59], s[14:15]
	v_fma_f64 v[171:172], v[32:33], s[28:29], v[99:100]
	v_add_f64 v[155:156], v[169:170], v[155:156]
	v_add_f64 v[159:160], v[173:174], v[159:160]
	v_fma_f64 v[169:170], v[26:27], s[6:7], -v[97:98]
	v_mul_f64 v[105:106], v[67:68], s[18:19]
	v_add_f64 v[113:114], v[113:114], v[117:118]
	v_add_f64 v[111:112], v[111:112], v[115:116]
	v_fma_f64 v[115:116], v[89:90], s[22:23], v[175:176]
	v_fma_f64 v[117:118], v[91:92], s[22:23], -v[179:180]
	v_mul_f64 v[89:90], v[69:70], s[30:31]
	v_add_f64 v[159:160], v[171:172], v[159:160]
	v_add_f64 v[155:156], v[169:170], v[155:156]
	v_fma_f64 v[169:170], v[30:31], s[18:19], -v[101:102]
	v_fma_f64 v[171:172], v[36:37], s[14:15], v[105:106]
	v_mul_f64 v[91:92], v[71:72], s[8:9]
	v_add_f64 v[113:114], v[115:116], v[113:114]
	v_add_f64 v[111:112], v[117:118], v[111:112]
	v_fma_f64 v[115:116], v[83:84], s[18:19], v[181:182]
	v_fma_f64 v[117:118], v[85:86], s[18:19], -v[183:184]
	v_mul_f64 v[83:84], v[75:76], s[16:17]
	v_add_f64 v[155:156], v[169:170], v[155:156]
	v_add_f64 v[159:160], v[171:172], v[159:160]
	v_fma_f64 v[169:170], v[34:35], s[8:9], -v[89:90]
	v_fma_f64 v[171:172], v[40:41], s[30:31], v[91:92]
	v_mul_f64 v[85:86], v[73:74], s[20:21]
	v_fma_f64 v[153:154], v[79:80], s[18:19], v[153:154]
	v_fma_f64 v[157:158], v[81:82], s[18:19], -v[157:158]
	v_fma_f64 v[165:166], v[79:80], s[6:7], -v[161:162]
	v_fma_f64 v[167:168], v[81:82], s[6:7], v[163:164]
	v_add_f64 v[115:116], v[115:116], v[113:114]
	v_add_f64 v[155:156], v[169:170], v[155:156]
	;; [unrolled: 1-line block ×3, first 2 shown]
	v_fma_f64 v[169:170], v[38:39], s[20:21], -v[83:84]
	v_fma_f64 v[171:172], v[42:43], s[16:17], v[85:86]
	v_add_f64 v[117:118], v[117:118], v[111:112]
	v_fma_f64 v[161:162], v[79:80], s[6:7], v[161:162]
	v_fma_f64 v[163:164], v[81:82], s[6:7], -v[163:164]
	v_add_f64 v[79:80], v[153:154], v[12:13]
	v_add_f64 v[81:82], v[157:158], v[14:15]
	;; [unrolled: 1-line block ×6, first 2 shown]
	s_movk_i32 s0, 0xd0
	v_add_f64 v[115:116], v[161:162], v[115:116]
	v_add_f64 v[117:118], v[163:164], v[117:118]
	v_mad_u32_u24 v149, v62, s0, v127
	v_cmp_gt_u32_e64 s[0:1], 3, v62
	s_barrier
	ds_write_b128 v149, v[16:19]
	ds_write_b128 v149, v[20:23] offset:16
	ds_write_b128 v149, v[119:122] offset:32
	;; [unrolled: 1-line block ×12, first 2 shown]
	s_and_saveexec_b64 s[46:47], s[0:1]
	s_cbranch_execz .LBB0_14
; %bb.13:
	v_mul_f64 v[16:17], v[77:78], s[20:21]
	v_mul_f64 v[18:19], v[48:49], s[16:17]
	;; [unrolled: 1-line block ×8, first 2 shown]
	v_fma_f64 v[22:23], v[46:47], s[42:43], v[16:17]
	v_fma_f64 v[125:126], v[44:45], s[20:21], v[18:19]
	;; [unrolled: 1-line block ×8, first 2 shown]
	v_add_f64 v[22:23], v[2:3], v[22:23]
	v_add_f64 v[125:126], v[0:1], v[125:126]
	;; [unrolled: 1-line block ×3, first 2 shown]
	v_fma_f64 v[133:134], v[32:33], s[30:31], v[133:134]
	v_fma_f64 v[149:150], v[30:31], s[22:23], v[145:146]
	v_fma_f64 v[18:19], v[44:45], s[20:21], -v[18:19]
	v_fma_f64 v[139:140], v[26:27], s[8:9], -v[139:140]
	v_mul_f64 v[151:152], v[77:78], s[8:9]
	v_add_f64 v[22:23], v[135:136], v[22:23]
	v_mul_f64 v[135:136], v[71:72], s[18:19]
	v_add_f64 v[125:126], v[141:142], v[125:126]
	v_add_f64 v[16:17], v[20:21], v[16:17]
	v_fma_f64 v[20:21], v[36:37], s[24:25], v[137:138]
	v_mul_f64 v[141:142], v[73:74], s[6:7]
	v_fma_f64 v[137:138], v[36:37], s[44:45], v[137:138]
	v_add_f64 v[18:19], v[0:1], v[18:19]
	v_add_f64 v[22:23], v[143:144], v[22:23]
	v_mul_f64 v[143:144], v[69:70], s[14:15]
	v_add_f64 v[125:126], v[147:148], v[125:126]
	v_add_f64 v[16:17], v[133:134], v[16:17]
	v_fma_f64 v[133:134], v[40:41], s[40:41], v[135:136]
	v_mul_f64 v[147:148], v[75:76], s[36:37]
	v_fma_f64 v[135:136], v[40:41], s[14:15], v[135:136]
	v_mul_f64 v[157:158], v[67:68], s[20:21]
	v_add_f64 v[20:21], v[20:21], v[22:23]
	v_fma_f64 v[22:23], v[34:35], s[18:19], v[143:144]
	v_add_f64 v[125:126], v[149:150], v[125:126]
	v_add_f64 v[16:17], v[137:138], v[16:17]
	v_fma_f64 v[137:138], v[42:43], s[28:29], v[141:142]
	v_fma_f64 v[149:150], v[24:25], s[4:5], -v[123:124]
	v_fma_f64 v[141:142], v[42:43], s[36:37], v[141:142]
	v_fma_f64 v[163:164], v[36:37], s[16:17], v[157:158]
	v_add_f64 v[20:21], v[133:134], v[20:21]
	v_fma_f64 v[133:134], v[38:39], s[6:7], v[147:148]
	v_add_f64 v[22:23], v[22:23], v[125:126]
	v_add_f64 v[135:136], v[135:136], v[16:17]
	v_fma_f64 v[143:144], v[34:35], s[18:19], -v[143:144]
	v_add_f64 v[149:150], v[149:150], v[18:19]
	v_fma_f64 v[157:158], v[36:37], s[42:43], v[157:158]
	v_mul_f64 v[167:168], v[54:55], s[38:39]
	v_add_f64 v[18:19], v[137:138], v[20:21]
	v_mul_f64 v[20:21], v[48:49], s[30:31]
	v_add_f64 v[16:17], v[133:134], v[22:23]
	v_add_f64 v[22:23], v[141:142], v[135:136]
	v_fma_f64 v[133:134], v[30:31], s[22:23], -v[145:146]
	v_mul_f64 v[135:136], v[52:53], s[6:7]
	v_fma_f64 v[137:138], v[46:47], s[34:35], v[151:152]
	v_add_f64 v[139:140], v[139:140], v[149:150]
	v_fma_f64 v[141:142], v[38:39], s[6:7], -v[147:148]
	v_mul_f64 v[145:146], v[50:51], s[36:37]
	v_fma_f64 v[147:148], v[44:45], s[8:9], v[20:21]
	v_mul_f64 v[149:150], v[56:57], s[22:23]
	v_fma_f64 v[20:21], v[44:45], s[8:9], -v[20:21]
	v_fma_f64 v[153:154], v[28:29], s[28:29], v[135:136]
	v_add_f64 v[137:138], v[2:3], v[137:138]
	v_add_f64 v[133:134], v[133:134], v[139:140]
	v_fma_f64 v[139:140], v[46:47], s[30:31], v[151:152]
	v_mul_f64 v[151:152], v[54:55], s[24:25]
	v_fma_f64 v[155:156], v[24:25], s[6:7], v[145:146]
	v_add_f64 v[147:148], v[0:1], v[147:148]
	v_fma_f64 v[159:160], v[32:33], s[44:45], v[149:150]
	v_fma_f64 v[135:136], v[28:29], s[36:37], v[135:136]
	v_add_f64 v[137:138], v[153:154], v[137:138]
	v_mul_f64 v[153:154], v[58:59], s[42:43]
	v_add_f64 v[139:140], v[2:3], v[139:140]
	v_fma_f64 v[161:162], v[26:27], s[22:23], v[151:152]
	v_fma_f64 v[149:150], v[32:33], s[24:25], v[149:150]
	v_add_f64 v[147:148], v[155:156], v[147:148]
	v_mul_f64 v[155:156], v[71:72], s[4:5]
	v_add_f64 v[133:134], v[143:144], v[133:134]
	v_add_f64 v[137:138], v[159:160], v[137:138]
	v_mul_f64 v[159:160], v[69:70], s[38:39]
	v_add_f64 v[135:136], v[135:136], v[139:140]
	v_fma_f64 v[139:140], v[30:31], s[20:21], v[153:154]
	v_fma_f64 v[145:146], v[24:25], s[6:7], -v[145:146]
	v_add_f64 v[147:148], v[161:162], v[147:148]
	v_mul_f64 v[161:162], v[73:74], s[18:19]
	v_fma_f64 v[165:166], v[40:41], s[26:27], v[155:156]
	v_add_f64 v[137:138], v[163:164], v[137:138]
	v_fma_f64 v[163:164], v[34:35], s[4:5], v[159:160]
	v_add_f64 v[135:136], v[149:150], v[135:136]
	v_mul_f64 v[149:150], v[75:76], s[14:15]
	v_fma_f64 v[159:160], v[34:35], s[4:5], -v[159:160]
	v_add_f64 v[139:140], v[139:140], v[147:148]
	v_fma_f64 v[147:148], v[40:41], s[38:39], v[155:156]
	v_fma_f64 v[143:144], v[42:43], s[40:41], v[161:162]
	;; [unrolled: 1-line block ×3, first 2 shown]
	v_add_f64 v[137:138], v[165:166], v[137:138]
	v_add_f64 v[135:136], v[157:158], v[135:136]
	v_fma_f64 v[155:156], v[38:39], s[18:19], v[149:150]
	v_mul_f64 v[157:158], v[77:78], s[18:19]
	v_add_f64 v[139:140], v[163:164], v[139:140]
	v_add_f64 v[163:164], v[0:1], v[20:21]
	;; [unrolled: 1-line block ×3, first 2 shown]
	v_fma_f64 v[141:142], v[26:27], s[22:23], -v[151:152]
	v_mul_f64 v[151:152], v[56:57], s[4:5]
	v_add_f64 v[147:148], v[147:148], v[135:136]
	v_add_f64 v[135:136], v[143:144], v[137:138]
	v_mul_f64 v[137:138], v[52:53], s[8:9]
	v_add_f64 v[133:134], v[155:156], v[139:140]
	v_add_f64 v[145:146], v[145:146], v[163:164]
	v_mul_f64 v[155:156], v[48:49], s[14:15]
	v_fma_f64 v[143:144], v[46:47], s[40:41], v[157:158]
	v_fma_f64 v[157:158], v[46:47], s[14:15], v[157:158]
	v_add_f64 v[139:140], v[161:162], v[147:148]
	v_fma_f64 v[147:148], v[30:31], s[20:21], -v[153:154]
	v_mul_f64 v[161:162], v[50:51], s[34:35]
	v_fma_f64 v[153:154], v[28:29], s[30:31], v[137:138]
	v_add_f64 v[141:142], v[141:142], v[145:146]
	v_fma_f64 v[165:166], v[44:45], s[18:19], v[155:156]
	v_add_f64 v[143:144], v[2:3], v[143:144]
	v_fma_f64 v[145:146], v[38:39], s[18:19], -v[149:150]
	v_mul_f64 v[149:150], v[67:68], s[6:7]
	v_fma_f64 v[137:138], v[28:29], s[34:35], v[137:138]
	v_fma_f64 v[169:170], v[24:25], s[8:9], v[161:162]
	v_add_f64 v[157:158], v[2:3], v[157:158]
	v_add_f64 v[141:142], v[147:148], v[141:142]
	;; [unrolled: 1-line block ×3, first 2 shown]
	v_fma_f64 v[163:164], v[32:33], s[26:27], v[151:152]
	v_add_f64 v[143:144], v[153:154], v[143:144]
	v_fma_f64 v[153:154], v[36:37], s[36:37], v[149:150]
	v_mul_f64 v[173:174], v[58:59], s[28:29]
	v_fma_f64 v[175:176], v[26:27], s[4:5], v[167:168]
	v_fma_f64 v[151:152], v[32:33], s[38:39], v[151:152]
	v_add_f64 v[141:142], v[159:160], v[141:142]
	v_add_f64 v[165:166], v[169:170], v[165:166]
	;; [unrolled: 1-line block ×3, first 2 shown]
	v_mul_f64 v[147:148], v[71:72], s[20:21]
	v_add_f64 v[143:144], v[163:164], v[143:144]
	v_mul_f64 v[163:164], v[73:74], s[22:23]
	v_mul_f64 v[159:160], v[69:70], s[42:43]
	v_fma_f64 v[169:170], v[30:31], s[6:7], v[173:174]
	v_add_f64 v[137:138], v[145:146], v[141:142]
	v_fma_f64 v[145:146], v[36:37], s[28:29], v[149:150]
	v_fma_f64 v[149:150], v[44:45], s[18:19], -v[155:156]
	v_add_f64 v[165:166], v[175:176], v[165:166]
	v_add_f64 v[151:152], v[151:152], v[157:158]
	v_fma_f64 v[157:158], v[24:25], s[8:9], -v[161:162]
	v_fma_f64 v[171:172], v[40:41], s[16:17], v[147:148]
	v_add_f64 v[143:144], v[153:154], v[143:144]
	v_fma_f64 v[153:154], v[42:43], s[24:25], v[163:164]
	v_fma_f64 v[141:142], v[34:35], s[20:21], v[159:160]
	v_add_f64 v[149:150], v[0:1], v[149:150]
	v_add_f64 v[155:156], v[169:170], v[165:166]
	v_fma_f64 v[147:148], v[40:41], s[42:43], v[147:148]
	v_add_f64 v[145:146], v[145:146], v[151:152]
	v_fma_f64 v[151:152], v[42:43], s[44:45], v[163:164]
	v_fma_f64 v[163:164], v[26:27], s[4:5], -v[167:168]
	v_mul_f64 v[161:162], v[77:78], s[6:7]
	v_mul_f64 v[165:166], v[52:53], s[20:21]
	v_add_f64 v[149:150], v[157:158], v[149:150]
	v_add_f64 v[141:142], v[141:142], v[155:156]
	v_mul_f64 v[155:156], v[48:49], s[28:29]
	v_add_f64 v[145:146], v[147:148], v[145:146]
	v_fma_f64 v[147:148], v[30:31], s[6:7], -v[173:174]
	v_mul_f64 v[157:158], v[50:51], s[16:17]
	v_fma_f64 v[167:168], v[46:47], s[36:37], v[161:162]
	v_mul_f64 v[173:174], v[56:57], s[18:19]
	v_add_f64 v[149:150], v[163:164], v[149:150]
	v_fma_f64 v[175:176], v[28:29], s[42:43], v[165:166]
	v_fma_f64 v[169:170], v[44:45], s[6:7], v[155:156]
	v_mul_f64 v[163:164], v[54:55], s[40:41]
	v_fma_f64 v[165:166], v[28:29], s[16:17], v[165:166]
	v_fma_f64 v[177:178], v[24:25], s[20:21], v[157:158]
	v_add_f64 v[167:168], v[2:3], v[167:168]
	v_add_f64 v[143:144], v[171:172], v[143:144]
	;; [unrolled: 1-line block ×3, first 2 shown]
	v_fma_f64 v[149:150], v[46:47], s[28:29], v[161:162]
	v_add_f64 v[169:170], v[0:1], v[169:170]
	v_mul_f64 v[171:172], v[75:76], s[44:45]
	v_fma_f64 v[159:160], v[34:35], s[20:21], -v[159:160]
	v_mul_f64 v[179:180], v[67:68], s[4:5]
	v_fma_f64 v[181:182], v[32:33], s[14:15], v[173:174]
	v_add_f64 v[167:168], v[175:176], v[167:168]
	v_mul_f64 v[175:176], v[58:59], s[38:39]
	v_add_f64 v[149:150], v[2:3], v[149:150]
	v_fma_f64 v[161:162], v[26:27], s[18:19], v[163:164]
	v_add_f64 v[169:170], v[177:178], v[169:170]
	v_fma_f64 v[173:174], v[32:33], s[40:41], v[173:174]
	v_add_f64 v[143:144], v[153:154], v[143:144]
	v_fma_f64 v[153:154], v[38:39], s[22:23], v[171:172]
	v_mul_f64 v[177:178], v[71:72], s[22:23]
	v_fma_f64 v[183:184], v[36:37], s[26:27], v[179:180]
	v_add_f64 v[149:150], v[165:166], v[149:150]
	v_add_f64 v[167:168], v[181:182], v[167:168]
	v_mul_f64 v[181:182], v[69:70], s[24:25]
	v_fma_f64 v[185:186], v[30:31], s[4:5], v[175:176]
	v_add_f64 v[161:162], v[161:162], v[169:170]
	v_fma_f64 v[171:172], v[38:39], s[22:23], -v[171:172]
	v_add_f64 v[159:160], v[159:160], v[147:148]
	v_fma_f64 v[179:180], v[36:37], s[38:39], v[179:180]
	v_add_f64 v[149:150], v[173:174], v[149:150]
	v_mul_f64 v[169:170], v[73:74], s[8:9]
	v_fma_f64 v[187:188], v[40:41], s[44:45], v[177:178]
	v_add_f64 v[167:168], v[183:184], v[167:168]
	v_mul_f64 v[183:184], v[75:76], s[30:31]
	v_fma_f64 v[165:166], v[34:35], s[22:23], v[181:182]
	v_add_f64 v[161:162], v[185:186], v[161:162]
	v_add_f64 v[141:142], v[153:154], v[141:142]
	;; [unrolled: 1-line block ×4, first 2 shown]
	v_fma_f64 v[153:154], v[40:41], s[24:25], v[177:178]
	v_mul_f64 v[77:78], v[77:78], s[22:23]
	v_add_f64 v[159:160], v[179:180], v[149:150]
	v_mul_f64 v[48:49], v[48:49], s[24:25]
	v_mul_f64 v[81:82], v[44:45], s[4:5]
	v_mul_f64 v[111:112], v[46:47], s[26:27]
	v_fma_f64 v[185:186], v[42:43], s[34:35], v[169:170]
	v_add_f64 v[167:168], v[187:188], v[167:168]
	v_fma_f64 v[173:174], v[38:39], s[8:9], v[183:184]
	v_add_f64 v[161:162], v[165:166], v[161:162]
	v_fma_f64 v[155:156], v[44:45], s[6:7], -v[155:156]
	v_mul_f64 v[52:53], v[52:53], s[18:19]
	v_fma_f64 v[165:166], v[46:47], s[44:45], v[77:78]
	v_add_f64 v[153:154], v[153:154], v[159:160]
	v_mul_f64 v[50:51], v[50:51], s[14:15]
	v_fma_f64 v[159:160], v[44:45], s[22:23], v[48:49]
	v_fma_f64 v[46:47], v[46:47], s[24:25], v[77:78]
	v_fma_f64 v[44:45], v[44:45], s[22:23], -v[48:49]
	v_mul_f64 v[79:80], v[24:25], s[22:23]
	v_mul_f64 v[113:114], v[28:29], s[24:25]
	v_add_f64 v[103:104], v[103:104], -v[111:112]
	v_add_f64 v[81:82], v[81:82], v[87:88]
	v_add_f64 v[151:152], v[185:186], v[167:168]
	;; [unrolled: 1-line block ×3, first 2 shown]
	v_fma_f64 v[161:162], v[42:43], s[30:31], v[169:170]
	v_fma_f64 v[157:158], v[24:25], s[20:21], -v[157:158]
	v_add_f64 v[155:156], v[0:1], v[155:156]
	v_mul_f64 v[56:57], v[56:57], s[20:21]
	v_fma_f64 v[167:168], v[28:29], s[40:41], v[52:53]
	v_mul_f64 v[54:55], v[54:55], s[16:17]
	v_fma_f64 v[169:170], v[24:25], s[18:19], v[50:51]
	v_fma_f64 v[28:29], v[28:29], s[14:15], v[52:53]
	v_add_f64 v[46:47], v[2:3], v[46:47]
	v_fma_f64 v[24:25], v[24:25], s[18:19], -v[50:51]
	v_add_f64 v[44:45], v[0:1], v[44:45]
	v_mul_f64 v[107:108], v[26:27], s[6:7]
	v_mul_f64 v[109:110], v[32:33], s[28:29]
	v_add_f64 v[165:166], v[2:3], v[165:166]
	v_add_f64 v[159:160], v[0:1], v[159:160]
	v_add_f64 v[50:51], v[95:96], -v[113:114]
	v_add_f64 v[2:3], v[2:3], v[103:104]
	v_add_f64 v[52:53], v[79:80], v[93:94]
	v_add_f64 v[0:1], v[0:1], v[81:82]
	v_fma_f64 v[163:164], v[26:27], s[18:19], -v[163:164]
	v_add_f64 v[155:156], v[157:158], v[155:156]
	v_mul_f64 v[67:68], v[67:68], s[8:9]
	v_fma_f64 v[157:158], v[32:33], s[42:43], v[56:57]
	v_mul_f64 v[58:59], v[58:59], s[34:35]
	v_fma_f64 v[171:172], v[26:27], s[20:21], v[54:55]
	v_fma_f64 v[32:33], v[32:33], s[16:17], v[56:57]
	v_add_f64 v[28:29], v[28:29], v[46:47]
	v_fma_f64 v[26:27], v[26:27], s[20:21], -v[54:55]
	v_add_f64 v[24:25], v[24:25], v[44:45]
	v_mul_f64 v[119:120], v[30:31], s[18:19]
	v_mul_f64 v[121:122], v[36:37], s[14:15]
	v_add_f64 v[165:166], v[167:168], v[165:166]
	v_add_f64 v[159:160], v[169:170], v[159:160]
	v_add_f64 v[44:45], v[99:100], -v[109:110]
	v_add_f64 v[2:3], v[50:51], v[2:3]
	v_add_f64 v[46:47], v[107:108], v[97:98]
	v_add_f64 v[0:1], v[52:53], v[0:1]
	;; [unrolled: 18-line block ×4, first 2 shown]
	v_fma_f64 v[32:33], v[42:43], s[38:39], v[73:74]
	v_add_f64 v[28:29], v[40:41], v[28:29]
	v_fma_f64 v[36:37], v[38:39], s[4:5], -v[75:76]
	v_add_f64 v[24:25], v[34:35], v[24:25]
	v_fma_f64 v[163:164], v[38:39], s[8:9], -v[183:184]
	v_add_f64 v[155:156], v[165:166], v[155:156]
	v_fma_f64 v[165:166], v[42:43], s[26:27], v[73:74]
	v_add_f64 v[77:78], v[167:168], v[157:158]
	v_fma_f64 v[48:49], v[38:39], s[4:5], v[75:76]
	v_add_f64 v[111:112], v[171:172], v[159:160]
	v_add_f64 v[34:35], v[85:86], -v[125:126]
	v_add_f64 v[38:39], v[30:31], v[2:3]
	v_add_f64 v[40:41], v[123:124], v[83:84]
	v_add_f64 v[42:43], v[26:27], v[0:1]
	v_add_f64 v[30:31], v[32:33], v[28:29]
	v_add_f64 v[28:29], v[36:37], v[24:25]
	v_add_f64 v[2:3], v[161:162], v[153:154]
	v_add_f64 v[0:1], v[163:164], v[155:156]
	v_mul_i32_i24_e32 v36, 0xd0, v66
	v_add3_u32 v36, 0, v36, v63
	v_add_f64 v[26:27], v[165:166], v[77:78]
	v_add_f64 v[24:25], v[48:49], v[111:112]
	;; [unrolled: 1-line block ×4, first 2 shown]
	ds_write_b128 v36, v[4:7]
	ds_write_b128 v36, v[12:15] offset:16
	ds_write_b128 v36, v[28:31] offset:32
	;; [unrolled: 1-line block ×12, first 2 shown]
.LBB0_14:
	s_or_b64 exec, exec, s[46:47]
	v_lshlrev_b32_e32 v0, 4, v66
	s_waitcnt lgkmcnt(0)
	s_barrier
	v_add3_u32 v68, 0, v0, v63
	ds_read_b128 v[20:23], v128
	ds_read_b128 v[0:3], v130 offset:1248
	ds_read_b128 v[44:47], v130 offset:3536
	;; [unrolled: 1-line block ×9, first 2 shown]
	ds_read_b128 v[24:27], v68
	ds_read_b128 v[40:43], v130 offset:7696
	v_cmp_gt_u32_e64 s[0:1], 26, v62
	s_and_saveexec_b64 s[4:5], s[0:1]
	s_cbranch_execz .LBB0_16
; %bb.15:
	ds_read_b128 v[8:11], v130 offset:2496
	ds_read_b128 v[4:7], v130 offset:5408
	;; [unrolled: 1-line block ×3, first 2 shown]
.LBB0_16:
	s_or_b64 exec, exec, s[4:5]
	s_movk_i32 s14, 0x4f
	v_mul_lo_u16_sdwa v67, v62, s14 dst_sel:DWORD dst_unused:UNUSED_PAD src0_sel:BYTE_0 src1_sel:DWORD
	v_lshrrev_b16_e32 v117, 10, v67
	v_mul_lo_u16_e32 v67, 13, v117
	v_sub_u16_e32 v118, v62, v67
	v_mov_b32_e32 v67, 5
	v_lshlrev_b32_sdwa v77, v67, v118 dst_sel:DWORD dst_unused:UNUSED_PAD src0_sel:DWORD src1_sel:BYTE_0
	global_load_dwordx4 v[69:72], v77, s[12:13] offset:16
	global_load_dwordx4 v[73:76], v77, s[12:13]
	v_mul_lo_u16_sdwa v77, v66, s14 dst_sel:DWORD dst_unused:UNUSED_PAD src0_sel:BYTE_0 src1_sel:DWORD
	v_lshrrev_b16_e32 v119, 10, v77
	v_mul_lo_u16_e32 v77, 13, v119
	v_sub_u16_e32 v120, v66, v77
	v_lshlrev_b32_sdwa v85, v67, v120 dst_sel:DWORD dst_unused:UNUSED_PAD src0_sel:DWORD src1_sel:BYTE_0
	global_load_dwordx4 v[77:80], v85, s[12:13] offset:16
	global_load_dwordx4 v[81:84], v85, s[12:13]
	v_add_u16_e32 v85, 0x4e, v62
	v_mul_lo_u16_sdwa v86, v85, s14 dst_sel:DWORD dst_unused:UNUSED_PAD src0_sel:BYTE_0 src1_sel:DWORD
	v_lshrrev_b16_e32 v121, 10, v86
	v_mul_lo_u16_e32 v86, 13, v121
	v_sub_u16_e32 v122, v85, v86
	v_lshlrev_b32_sdwa v93, v67, v122 dst_sel:DWORD dst_unused:UNUSED_PAD src0_sel:DWORD src1_sel:BYTE_0
	global_load_dwordx4 v[85:88], v93, s[12:13] offset:16
	global_load_dwordx4 v[89:92], v93, s[12:13]
	v_add_u16_e32 v93, 0x75, v62
	v_mul_lo_u16_sdwa v94, v93, s14 dst_sel:DWORD dst_unused:UNUSED_PAD src0_sel:BYTE_0 src1_sel:DWORD
	v_lshrrev_b16_e32 v123, 10, v94
	v_mul_lo_u16_e32 v94, 13, v123
	v_sub_u16_e32 v124, v93, v94
	v_lshlrev_b32_sdwa v101, v67, v124 dst_sel:DWORD dst_unused:UNUSED_PAD src0_sel:DWORD src1_sel:BYTE_0
	global_load_dwordx4 v[93:96], v101, s[12:13]
	global_load_dwordx4 v[97:100], v101, s[12:13] offset:16
	s_mov_b32 s4, 0xe8584caa
	s_mov_b32 s5, 0x3febb67a
	;; [unrolled: 1-line block ×4, first 2 shown]
	s_movk_i32 s15, 0x270
	s_waitcnt vmcnt(0) lgkmcnt(0)
	s_barrier
	v_mul_f64 v[103:104], v[58:59], v[71:72]
	v_mul_f64 v[101:102], v[54:55], v[75:76]
	;; [unrolled: 1-line block ×8, first 2 shown]
	v_fma_f64 v[52:53], v[52:53], v[73:74], -v[101:102]
	v_fma_f64 v[54:55], v[54:55], v[73:74], v[75:76]
	v_fma_f64 v[56:57], v[56:57], v[69:70], -v[103:104]
	v_mul_f64 v[111:112], v[34:35], v[87:88]
	v_mul_f64 v[109:110], v[30:31], v[91:92]
	;; [unrolled: 1-line block ×4, first 2 shown]
	v_fma_f64 v[58:59], v[58:59], v[69:70], v[71:72]
	v_fma_f64 v[44:45], v[44:45], v[81:82], -v[105:106]
	v_fma_f64 v[46:47], v[46:47], v[81:82], v[83:84]
	v_mul_f64 v[113:114], v[38:39], v[95:96]
	v_mul_f64 v[115:116], v[42:43], v[99:100]
	;; [unrolled: 1-line block ×4, first 2 shown]
	v_fma_f64 v[48:49], v[48:49], v[77:78], -v[107:108]
	v_fma_f64 v[50:51], v[50:51], v[77:78], v[79:80]
	v_fma_f64 v[28:29], v[28:29], v[89:90], -v[109:110]
	v_fma_f64 v[30:31], v[30:31], v[89:90], v[91:92]
	;; [unrolled: 2-line block ×3, first 2 shown]
	v_fma_f64 v[36:37], v[36:37], v[93:94], -v[113:114]
	v_fma_f64 v[40:41], v[40:41], v[97:98], -v[115:116]
	v_fma_f64 v[38:39], v[38:39], v[93:94], v[95:96]
	v_fma_f64 v[71:72], v[42:43], v[97:98], v[99:100]
	v_add_f64 v[42:43], v[20:21], v[52:53]
	v_add_f64 v[69:70], v[52:53], v[56:57]
	v_add_f64 v[73:74], v[54:55], -v[58:59]
	v_add_f64 v[75:76], v[22:23], v[54:55]
	v_add_f64 v[54:55], v[54:55], v[58:59]
	;; [unrolled: 1-line block ×4, first 2 shown]
	v_add_f64 v[81:82], v[46:47], -v[50:51]
	v_add_f64 v[83:84], v[26:27], v[46:47]
	v_add_f64 v[46:47], v[46:47], v[50:51]
	;; [unrolled: 1-line block ×6, first 2 shown]
	v_add_f64 v[101:102], v[38:39], -v[71:72]
	v_add_f64 v[103:104], v[18:19], v[38:39]
	v_add_f64 v[38:39], v[38:39], v[71:72]
	v_add_f64 v[52:53], v[52:53], -v[56:57]
	v_add_f64 v[85:86], v[44:45], -v[48:49]
	v_add_f64 v[44:45], v[0:1], v[28:29]
	v_add_f64 v[95:96], v[28:29], -v[32:33]
	v_add_f64 v[97:98], v[16:17], v[36:37]
	;; [unrolled: 2-line block ×3, first 2 shown]
	v_fma_f64 v[36:37], v[69:70], -0.5, v[20:21]
	v_fma_f64 v[42:43], v[54:55], -0.5, v[22:23]
	v_add_f64 v[20:21], v[77:78], v[48:49]
	v_fma_f64 v[48:49], v[79:80], -0.5, v[24:25]
	v_fma_f64 v[46:47], v[46:47], -0.5, v[26:27]
	v_add_f64 v[89:90], v[30:31], -v[34:35]
	v_fma_f64 v[0:1], v[87:88], -0.5, v[0:1]
	v_fma_f64 v[2:3], v[93:94], -0.5, v[2:3]
	v_add_f64 v[26:27], v[91:92], v[34:35]
	v_fma_f64 v[34:35], v[99:100], -0.5, v[16:17]
	v_add_f64 v[30:31], v[75:76], v[58:59]
	v_fma_f64 v[75:76], v[38:39], -0.5, v[18:19]
	v_fma_f64 v[16:17], v[73:74], s[4:5], v[36:37]
	v_fma_f64 v[18:19], v[52:53], s[6:7], v[42:43]
	v_add_f64 v[22:23], v[83:84], v[50:51]
	v_fma_f64 v[36:37], v[73:74], s[6:7], v[36:37]
	v_fma_f64 v[38:39], v[52:53], s[4:5], v[42:43]
	v_add_f64 v[24:25], v[44:45], v[32:33]
	v_add_f64 v[32:33], v[97:98], v[40:41]
	v_fma_f64 v[40:41], v[81:82], s[4:5], v[48:49]
	v_fma_f64 v[42:43], v[85:86], s[6:7], v[46:47]
	;; [unrolled: 1-line block ×7, first 2 shown]
	v_mov_b32_e32 v0, 4
	v_fma_f64 v[54:55], v[95:96], s[4:5], v[2:3]
	v_fma_f64 v[56:57], v[101:102], s[4:5], v[34:35]
	;; [unrolled: 1-line block ×3, first 2 shown]
	v_add_f64 v[34:35], v[103:104], v[71:72]
	v_mad_u32_u24 v1, v117, s15, 0
	v_lshlrev_b32_sdwa v2, v0, v118 dst_sel:DWORD dst_unused:UNUSED_PAD src0_sel:DWORD src1_sel:BYTE_0
	v_fma_f64 v[58:59], v[105:106], s[6:7], v[75:76]
	v_add3_u32 v1, v1, v2, v63
	v_fma_f64 v[71:72], v[105:106], s[4:5], v[75:76]
	ds_write_b128 v1, v[28:31]
	ds_write_b128 v1, v[16:19] offset:208
	ds_write_b128 v1, v[36:39] offset:416
	v_mad_u32_u24 v1, v119, s15, 0
	v_lshlrev_b32_sdwa v2, v0, v120 dst_sel:DWORD dst_unused:UNUSED_PAD src0_sel:DWORD src1_sel:BYTE_0
	v_add3_u32 v1, v1, v2, v63
	ds_write_b128 v1, v[20:23]
	ds_write_b128 v1, v[40:43] offset:208
	ds_write_b128 v1, v[44:47] offset:416
	v_mad_u32_u24 v1, v121, s15, 0
	v_lshlrev_b32_sdwa v2, v0, v122 dst_sel:DWORD dst_unused:UNUSED_PAD src0_sel:DWORD src1_sel:BYTE_0
	v_add3_u32 v1, v1, v2, v63
	;; [unrolled: 6-line block ×3, first 2 shown]
	ds_write_b128 v1, v[32:35]
	ds_write_b128 v1, v[56:59] offset:208
	ds_write_b128 v1, v[69:72] offset:416
	s_and_saveexec_b64 s[8:9], s[0:1]
	s_cbranch_execz .LBB0_18
; %bb.17:
	v_add_u16_e32 v1, 0x9c, v62
	v_mul_lo_u16_sdwa v2, v1, s14 dst_sel:DWORD dst_unused:UNUSED_PAD src0_sel:BYTE_0 src1_sel:DWORD
	v_lshrrev_b16_e32 v26, 10, v2
	v_mul_lo_u16_e32 v2, 13, v26
	v_sub_u16_e32 v27, v1, v2
	v_lshlrev_b32_sdwa v1, v67, v27 dst_sel:DWORD dst_unused:UNUSED_PAD src0_sel:DWORD src1_sel:BYTE_0
	global_load_dwordx4 v[16:19], v1, s[12:13]
	global_load_dwordx4 v[20:23], v1, s[12:13] offset:16
	v_lshlrev_b32_sdwa v0, v0, v27 dst_sel:DWORD dst_unused:UNUSED_PAD src0_sel:DWORD src1_sel:BYTE_0
	s_waitcnt vmcnt(1)
	v_mul_f64 v[1:2], v[4:5], v[18:19]
	s_waitcnt vmcnt(0)
	v_mul_f64 v[24:25], v[12:13], v[22:23]
	v_mul_f64 v[18:19], v[6:7], v[18:19]
	;; [unrolled: 1-line block ×3, first 2 shown]
	v_fma_f64 v[1:2], v[6:7], v[16:17], v[1:2]
	v_fma_f64 v[6:7], v[14:15], v[20:21], v[24:25]
	v_fma_f64 v[3:4], v[4:5], v[16:17], -v[18:19]
	v_fma_f64 v[12:13], v[12:13], v[20:21], -v[22:23]
	v_add_f64 v[20:21], v[10:11], v[1:2]
	v_add_f64 v[14:15], v[1:2], v[6:7]
	;; [unrolled: 1-line block ×4, first 2 shown]
	v_add_f64 v[18:19], v[3:4], -v[12:13]
	v_add_f64 v[3:4], v[20:21], v[6:7]
	v_fma_f64 v[10:11], v[14:15], -0.5, v[10:11]
	v_add_f64 v[14:15], v[1:2], -v[6:7]
	v_fma_f64 v[16:17], v[16:17], -0.5, v[8:9]
	v_add_f64 v[1:2], v[22:23], v[12:13]
	v_mad_u32_u24 v13, v26, s15, 0
	v_add3_u32 v0, v13, v0, v63
	v_fma_f64 v[7:8], v[18:19], s[4:5], v[10:11]
	v_fma_f64 v[11:12], v[18:19], s[6:7], v[10:11]
	v_fma_f64 v[9:10], v[14:15], s[4:5], v[16:17]
	v_fma_f64 v[5:6], v[14:15], s[6:7], v[16:17]
	ds_write_b128 v0, v[1:4]
	ds_write_b128 v0, v[9:12] offset:208
	ds_write_b128 v0, v[5:8] offset:416
.LBB0_18:
	s_or_b64 exec, exec, s[8:9]
	v_mul_u32_u24_e32 v0, 6, v62
	v_lshlrev_b32_e32 v24, 4, v0
	s_waitcnt lgkmcnt(0)
	s_barrier
	global_load_dwordx4 v[0:3], v24, s[12:13] offset:416
	global_load_dwordx4 v[4:7], v24, s[12:13] offset:432
	;; [unrolled: 1-line block ×6, first 2 shown]
	ds_read_b128 v[24:27], v128
	ds_read_b128 v[28:31], v130 offset:1248
	ds_read_b128 v[32:35], v130 offset:2496
	ds_read_b128 v[36:39], v130 offset:1872
	ds_read_b128 v[40:43], v130 offset:3744
	ds_read_b128 v[44:47], v130 offset:3120
	ds_read_b128 v[48:51], v130 offset:4992
	ds_read_b128 v[52:55], v130 offset:4368
	ds_read_b128 v[56:59], v130 offset:6240
	ds_read_b128 v[69:72], v130 offset:5616
	ds_read_b128 v[73:76], v130 offset:7488
	ds_read_b128 v[77:80], v130 offset:6864
	ds_read_b128 v[81:84], v68
	ds_read_b128 v[85:88], v130 offset:8112
	s_mov_b32 s4, 0x37e14327
	s_mov_b32 s6, 0x429ad128
	;; [unrolled: 1-line block ×20, first 2 shown]
	v_mov_b32_e32 v63, 0
	s_waitcnt vmcnt(0) lgkmcnt(0)
	s_barrier
	v_mov_b32_e32 v67, v63
	v_mul_f64 v[89:90], v[30:31], v[2:3]
	v_mul_f64 v[91:92], v[28:29], v[2:3]
	;; [unrolled: 1-line block ×16, first 2 shown]
	v_fma_f64 v[28:29], v[28:29], v[0:1], -v[89:90]
	v_fma_f64 v[30:31], v[30:31], v[0:1], v[91:92]
	v_fma_f64 v[32:33], v[32:33], v[4:5], -v[93:94]
	v_fma_f64 v[34:35], v[34:35], v[4:5], v[95:96]
	;; [unrolled: 2-line block ×4, first 2 shown]
	v_mul_f64 v[115:116], v[46:47], v[6:7]
	v_mul_f64 v[6:7], v[44:45], v[6:7]
	;; [unrolled: 1-line block ×6, first 2 shown]
	v_fma_f64 v[40:41], v[40:41], v[8:9], -v[97:98]
	v_fma_f64 v[42:43], v[42:43], v[8:9], v[99:100]
	v_fma_f64 v[48:49], v[48:49], v[12:13], -v[101:102]
	v_fma_f64 v[50:51], v[50:51], v[12:13], v[103:104]
	;; [unrolled: 2-line block ×4, first 2 shown]
	v_add_f64 v[0:1], v[28:29], v[73:74]
	v_add_f64 v[2:3], v[30:31], v[75:76]
	;; [unrolled: 1-line block ×4, first 2 shown]
	v_fma_f64 v[44:45], v[44:45], v[4:5], -v[115:116]
	v_fma_f64 v[46:47], v[46:47], v[4:5], v[6:7]
	v_fma_f64 v[69:70], v[69:70], v[12:13], -v[119:120]
	v_fma_f64 v[71:72], v[71:72], v[12:13], v[14:15]
	v_fma_f64 v[77:78], v[77:78], v[16:17], -v[121:122]
	v_fma_f64 v[79:80], v[79:80], v[16:17], v[18:19]
	v_add_f64 v[4:5], v[28:29], -v[73:74]
	v_add_f64 v[6:7], v[30:31], -v[75:76]
	;; [unrolled: 1-line block ×4, first 2 shown]
	v_add_f64 v[16:17], v[40:41], v[48:49]
	v_add_f64 v[18:19], v[42:43], v[50:51]
	v_add_f64 v[28:29], v[48:49], -v[40:41]
	v_add_f64 v[30:31], v[50:51], -v[42:43]
	v_add_f64 v[32:33], v[8:9], v[0:1]
	v_add_f64 v[34:35], v[10:11], v[2:3]
	v_add_f64 v[40:41], v[8:9], -v[0:1]
	v_add_f64 v[42:43], v[10:11], -v[2:3]
	;; [unrolled: 1-line block ×6, first 2 shown]
	v_add_f64 v[48:49], v[28:29], v[12:13]
	v_add_f64 v[50:51], v[30:31], v[14:15]
	v_add_f64 v[56:57], v[28:29], -v[12:13]
	v_add_f64 v[58:59], v[30:31], -v[14:15]
	;; [unrolled: 1-line block ×4, first 2 shown]
	v_add_f64 v[16:17], v[16:17], v[32:33]
	v_add_f64 v[18:19], v[18:19], v[34:35]
	v_add_f64 v[28:29], v[4:5], -v[28:29]
	v_add_f64 v[30:31], v[6:7], -v[30:31]
	v_mul_f64 v[32:33], v[0:1], s[4:5]
	v_mul_f64 v[34:35], v[2:3], s[4:5]
	;; [unrolled: 1-line block ×4, first 2 shown]
	v_add_f64 v[0:1], v[24:25], v[16:17]
	v_add_f64 v[2:3], v[26:27], v[18:19]
	v_mul_f64 v[24:25], v[12:13], s[6:7]
	v_mul_f64 v[26:27], v[14:15], s[6:7]
	v_add_f64 v[4:5], v[48:49], v[4:5]
	v_add_f64 v[6:7], v[50:51], v[6:7]
	v_mul_f64 v[48:49], v[8:9], s[0:1]
	v_mul_f64 v[50:51], v[10:11], s[0:1]
	;; [unrolled: 1-line block ×4, first 2 shown]
	v_fma_f64 v[8:9], v[8:9], s[0:1], v[32:33]
	v_fma_f64 v[10:11], v[10:11], s[0:1], v[34:35]
	;; [unrolled: 1-line block ×4, first 2 shown]
	v_fma_f64 v[32:33], v[40:41], s[18:19], -v[32:33]
	v_fma_f64 v[34:35], v[42:43], s[18:19], -v[34:35]
	;; [unrolled: 1-line block ×6, first 2 shown]
	v_fma_f64 v[40:41], v[28:29], s[20:21], v[56:57]
	v_fma_f64 v[42:43], v[30:31], s[20:21], v[58:59]
	v_fma_f64 v[12:13], v[12:13], s[6:7], -v[56:57]
	v_fma_f64 v[14:15], v[14:15], s[6:7], -v[58:59]
	v_add_f64 v[32:33], v[32:33], v[16:17]
	v_add_f64 v[34:35], v[34:35], v[18:19]
	v_fma_f64 v[26:27], v[6:7], s[22:23], v[26:27]
	v_fma_f64 v[24:25], v[4:5], s[22:23], v[24:25]
	v_fma_f64 v[56:57], v[85:86], v[20:21], -v[123:124]
	v_fma_f64 v[58:59], v[87:88], v[20:21], v[22:23]
	v_add_f64 v[28:29], v[8:9], v[16:17]
	v_add_f64 v[30:31], v[10:11], v[18:19]
	;; [unrolled: 1-line block ×4, first 2 shown]
	v_fma_f64 v[16:17], v[6:7], s[22:23], v[14:15]
	v_fma_f64 v[18:19], v[4:5], s[22:23], v[12:13]
	v_add_f64 v[8:9], v[26:27], v[32:33]
	v_add_f64 v[10:11], v[34:35], -v[24:25]
	v_add_f64 v[20:21], v[32:33], -v[26:27]
	v_add_f64 v[22:23], v[24:25], v[34:35]
	v_add_f64 v[24:25], v[36:37], v[56:57]
	;; [unrolled: 1-line block ×3, first 2 shown]
	v_add_f64 v[32:33], v[36:37], -v[56:57]
	v_add_f64 v[34:35], v[38:39], -v[58:59]
	v_add_f64 v[36:37], v[44:45], v[77:78]
	v_add_f64 v[38:39], v[46:47], v[79:80]
	v_add_f64 v[12:13], v[48:49], -v[16:17]
	v_add_f64 v[14:15], v[18:19], v[50:51]
	v_add_f64 v[16:17], v[16:17], v[48:49]
	v_add_f64 v[18:19], v[50:51], -v[18:19]
	v_add_f64 v[44:45], v[44:45], -v[77:78]
	;; [unrolled: 1-line block ×3, first 2 shown]
	v_add_f64 v[48:49], v[52:53], v[69:70]
	v_add_f64 v[50:51], v[54:55], v[71:72]
	v_add_f64 v[52:53], v[69:70], -v[52:53]
	v_add_f64 v[54:55], v[71:72], -v[54:55]
	v_add_f64 v[56:57], v[36:37], v[24:25]
	v_add_f64 v[58:59], v[38:39], v[26:27]
	v_add_f64 v[69:70], v[36:37], -v[24:25]
	v_add_f64 v[71:72], v[38:39], -v[26:27]
	;; [unrolled: 1-line block ×6, first 2 shown]
	v_add_f64 v[24:25], v[52:53], v[44:45]
	v_add_f64 v[26:27], v[54:55], v[46:47]
	v_add_f64 v[77:78], v[52:53], -v[44:45]
	v_add_f64 v[79:80], v[54:55], -v[46:47]
	v_add_f64 v[48:49], v[48:49], v[56:57]
	v_add_f64 v[50:51], v[50:51], v[58:59]
	v_add_f64 v[44:45], v[44:45], -v[32:33]
	v_add_f64 v[46:47], v[46:47], -v[34:35]
	;; [unrolled: 1-line block ×4, first 2 shown]
	v_add_f64 v[32:33], v[24:25], v[32:33]
	v_add_f64 v[34:35], v[26:27], v[34:35]
	;; [unrolled: 1-line block ×4, first 2 shown]
	v_mul_f64 v[56:57], v[73:74], s[4:5]
	v_mul_f64 v[58:59], v[75:76], s[4:5]
	;; [unrolled: 1-line block ×8, first 2 shown]
	v_fma_f64 v[48:49], v[48:49], s[14:15], v[24:25]
	v_fma_f64 v[50:51], v[50:51], s[14:15], v[26:27]
	;; [unrolled: 1-line block ×4, first 2 shown]
	v_fma_f64 v[73:74], v[69:70], s[16:17], -v[73:74]
	v_fma_f64 v[75:76], v[71:72], s[16:17], -v[75:76]
	;; [unrolled: 1-line block ×4, first 2 shown]
	v_fma_f64 v[69:70], v[52:53], s[20:21], v[77:78]
	v_fma_f64 v[71:72], v[54:55], s[20:21], v[79:80]
	v_fma_f64 v[44:45], v[44:45], s[6:7], -v[77:78]
	v_fma_f64 v[46:47], v[46:47], s[6:7], -v[79:80]
	;; [unrolled: 1-line block ×4, first 2 shown]
	v_fma_f64 v[42:43], v[6:7], s[22:23], v[42:43]
	v_fma_f64 v[40:41], v[4:5], s[22:23], v[40:41]
	v_add_f64 v[77:78], v[36:37], v[48:49]
	v_add_f64 v[79:80], v[38:39], v[50:51]
	;; [unrolled: 1-line block ×6, first 2 shown]
	v_fma_f64 v[56:57], v[34:35], s[22:23], v[71:72]
	v_fma_f64 v[58:59], v[32:33], s[22:23], v[69:70]
	;; [unrolled: 1-line block ×6, first 2 shown]
	v_add_f64 v[4:5], v[42:43], v[28:29]
	v_add_f64 v[6:7], v[30:31], -v[40:41]
	v_add_f64 v[28:29], v[28:29], -v[42:43]
	v_add_f64 v[30:31], v[40:41], v[30:31]
	v_add_f64 v[32:33], v[56:57], v[77:78]
	v_add_f64 v[34:35], v[79:80], -v[58:59]
	v_add_f64 v[36:37], v[54:55], v[48:49]
	v_add_f64 v[38:39], v[50:51], -v[52:53]
	v_add_f64 v[40:41], v[73:74], -v[46:47]
	v_add_f64 v[42:43], v[69:70], v[75:76]
	v_add_f64 v[44:45], v[46:47], v[73:74]
	v_add_f64 v[46:47], v[75:76], -v[69:70]
	v_add_f64 v[48:49], v[48:49], -v[54:55]
	v_add_f64 v[50:51], v[52:53], v[50:51]
	v_add_f64 v[52:53], v[77:78], -v[56:57]
	v_add_f64 v[54:55], v[58:59], v[79:80]
	ds_write_b128 v130, v[0:3]
	ds_write_b128 v130, v[4:7] offset:624
	ds_write_b128 v130, v[8:11] offset:1248
	;; [unrolled: 1-line block ×13, first 2 shown]
	v_lshlrev_b64 v[4:5], 4, v[62:63]
	v_mov_b32_e32 v8, s13
	v_add_co_u32_e64 v0, s[0:1], s12, v4
	v_addc_co_u32_e64 v1, s[0:1], v8, v5, s[0:1]
	s_movk_i32 s4, 0x1000
	v_add_co_u32_e64 v32, s[0:1], s4, v0
	v_addc_co_u32_e64 v33, s[0:1], 0, v1, s[0:1]
	v_lshlrev_b64 v[6:7], 4, v[66:67]
	s_waitcnt lgkmcnt(0)
	s_barrier
	global_load_dwordx4 v[0:3], v[32:33], off offset:64
	v_add_co_u32_e64 v9, s[0:1], s12, v6
	v_addc_co_u32_e64 v8, s[0:1], v8, v7, s[0:1]
	v_add_co_u32_e64 v34, s[0:1], s4, v9
	v_addc_co_u32_e64 v35, s[0:1], 0, v8, s[0:1]
	global_load_dwordx4 v[8:11], v[34:35], off offset:64
	global_load_dwordx4 v[12:15], v[32:33], off offset:1312
	;; [unrolled: 1-line block ×6, first 2 shown]
	ds_read_b128 v[32:35], v130 offset:4368
	ds_read_b128 v[36:39], v130 offset:4992
	ds_read_b128 v[40:43], v128
	ds_read_b128 v[44:47], v130 offset:1248
	ds_read_b128 v[48:51], v130 offset:5616
	;; [unrolled: 1-line block ×9, first 2 shown]
	ds_read_b128 v[89:92], v68
	ds_read_b128 v[93:96], v130 offset:8112
	v_lshl_add_u32 v63, v131, 4, v132
	s_waitcnt vmcnt(0) lgkmcnt(0)
	s_barrier
	s_add_u32 s6, s12, 0x2150
	s_addc_u32 s7, s13, 0
	v_cmp_ne_u32_e64 s[0:1], 0, v62
	v_mul_f64 v[97:98], v[34:35], v[2:3]
	v_mul_f64 v[2:3], v[32:33], v[2:3]
	;; [unrolled: 1-line block ×4, first 2 shown]
	v_fma_f64 v[32:33], v[32:33], v[0:1], -v[97:98]
	v_fma_f64 v[2:3], v[34:35], v[0:1], v[2:3]
	v_mul_f64 v[0:1], v[50:51], v[14:15]
	v_fma_f64 v[34:35], v[36:37], v[8:9], -v[99:100]
	v_fma_f64 v[10:11], v[38:39], v[8:9], v[10:11]
	v_mul_f64 v[8:9], v[48:49], v[14:15]
	v_mul_f64 v[14:15], v[54:55], v[18:19]
	;; [unrolled: 1-line block ×7, first 2 shown]
	v_fma_f64 v[48:49], v[48:49], v[12:13], -v[0:1]
	v_fma_f64 v[50:51], v[50:51], v[12:13], v[8:9]
	v_fma_f64 v[52:53], v[52:53], v[16:17], -v[14:15]
	v_fma_f64 v[54:55], v[54:55], v[16:17], v[18:19]
	v_mul_f64 v[16:17], v[95:96], v[30:31]
	v_mul_f64 v[18:19], v[93:94], v[30:31]
	v_fma_f64 v[36:37], v[73:74], v[20:21], -v[36:37]
	v_fma_f64 v[73:74], v[75:76], v[20:21], v[22:23]
	v_fma_f64 v[38:39], v[77:78], v[24:25], -v[38:39]
	v_fma_f64 v[75:76], v[79:80], v[24:25], v[26:27]
	v_add_f64 v[0:1], v[40:41], -v[32:33]
	v_add_f64 v[2:3], v[42:43], -v[2:3]
	v_add_f64 v[12:13], v[44:45], -v[48:49]
	v_add_f64 v[14:15], v[46:47], -v[50:51]
	v_fma_f64 v[48:49], v[93:94], v[28:29], -v[16:17]
	v_fma_f64 v[50:51], v[95:96], v[28:29], v[18:19]
	v_add_f64 v[8:9], v[89:90], -v[34:35]
	v_add_f64 v[10:11], v[91:92], -v[10:11]
	;; [unrolled: 1-line block ×4, first 2 shown]
	v_fma_f64 v[16:17], v[40:41], 2.0, -v[0:1]
	v_fma_f64 v[18:19], v[42:43], 2.0, -v[2:3]
	v_add_f64 v[32:33], v[69:70], -v[36:37]
	v_add_f64 v[34:35], v[71:72], -v[73:74]
	;; [unrolled: 1-line block ×6, first 2 shown]
	v_fma_f64 v[20:21], v[89:90], 2.0, -v[8:9]
	v_fma_f64 v[22:23], v[91:92], 2.0, -v[10:11]
	;; [unrolled: 1-line block ×12, first 2 shown]
	ds_write_b128 v130, v[16:19]
	ds_write_b128 v130, v[0:3] offset:4368
	ds_write_b128 v68, v[20:23]
	ds_write_b128 v68, v[8:11] offset:4368
	ds_write_b128 v130, v[24:27] offset:1248
	;; [unrolled: 1-line block ×11, first 2 shown]
	s_waitcnt lgkmcnt(0)
	s_barrier
	ds_read_b128 v[0:3], v128
	v_sub_u32_e32 v12, v127, v129
                                        ; implicit-def: $vgpr10_vgpr11
                                        ; implicit-def: $vgpr8_vgpr9
	s_and_saveexec_b64 s[4:5], s[0:1]
	s_xor_b64 s[4:5], exec, s[4:5]
	s_cbranch_execz .LBB0_20
; %bb.19:
	v_mov_b32_e32 v9, s7
	v_add_co_u32_e64 v8, s[0:1], s6, v4
	v_addc_co_u32_e64 v9, s[0:1], v9, v5, s[0:1]
	global_load_dwordx4 v[13:16], v[8:9], off
	ds_read_b128 v[8:11], v12 offset:8736
	s_waitcnt lgkmcnt(0)
	v_add_f64 v[17:18], v[0:1], -v[8:9]
	v_add_f64 v[19:20], v[2:3], v[10:11]
	v_add_f64 v[2:3], v[2:3], -v[10:11]
	v_add_f64 v[0:1], v[0:1], v[8:9]
	v_mul_f64 v[10:11], v[17:18], 0.5
	v_mul_f64 v[17:18], v[19:20], 0.5
	;; [unrolled: 1-line block ×3, first 2 shown]
	s_waitcnt vmcnt(0)
	v_mul_f64 v[8:9], v[10:11], v[15:16]
	v_fma_f64 v[19:20], v[17:18], v[15:16], v[2:3]
	v_fma_f64 v[2:3], v[17:18], v[15:16], -v[2:3]
	v_fma_f64 v[15:16], v[0:1], 0.5, v[8:9]
	v_fma_f64 v[0:1], v[0:1], 0.5, -v[8:9]
	v_fma_f64 v[19:20], -v[13:14], v[10:11], v[19:20]
	v_fma_f64 v[2:3], -v[13:14], v[10:11], v[2:3]
	ds_write_b64 v128, v[19:20] offset:8
	ds_write_b64 v12, v[2:3] offset:8744
	v_fma_f64 v[8:9], v[17:18], v[13:14], v[15:16]
	v_fma_f64 v[10:11], -v[17:18], v[13:14], v[0:1]
                                        ; implicit-def: $vgpr0_vgpr1
.LBB0_20:
	s_andn2_saveexec_b64 s[0:1], s[4:5]
	s_cbranch_execz .LBB0_22
; %bb.21:
	s_mov_b32 s4, 0
	s_mov_b32 s5, s4
	v_mov_b32_e32 v14, s5
	s_waitcnt lgkmcnt(0)
	v_add_f64 v[8:9], v[0:1], v[2:3]
	v_mov_b32_e32 v13, s4
	v_add_f64 v[10:11], v[0:1], -v[2:3]
	ds_write_b64 v128, v[13:14] offset:8
	ds_write_b64 v12, v[13:14] offset:8744
	ds_read_b64 v[0:1], v127 offset:4376
	s_waitcnt lgkmcnt(0)
	v_xor_b32_e32 v1, 0x80000000, v1
	ds_write_b64 v127, v[0:1] offset:4376
.LBB0_22:
	s_or_b64 exec, exec, s[0:1]
	s_waitcnt lgkmcnt(0)
	v_mov_b32_e32 v1, s7
	v_add_co_u32_e64 v0, s[0:1], s6, v6
	v_addc_co_u32_e64 v1, s[0:1], v1, v7, s[0:1]
	global_load_dwordx4 v[0:3], v[0:1], off
	v_mov_b32_e32 v6, s7
	v_add_co_u32_e64 v17, s[0:1], s6, v4
	v_addc_co_u32_e64 v18, s[0:1], v6, v5, s[0:1]
	global_load_dwordx4 v[4:7], v[17:18], off offset:1248
	ds_write_b64 v128, v[8:9]
	ds_write_b64 v12, v[10:11] offset:8736
	v_lshl_add_u32 v25, v66, 4, v127
	ds_read_b128 v[8:11], v25
	ds_read_b128 v[13:16], v12 offset:8112
	s_waitcnt lgkmcnt(0)
	v_add_f64 v[19:20], v[8:9], -v[13:14]
	v_add_f64 v[21:22], v[10:11], v[15:16]
	v_add_f64 v[10:11], v[10:11], -v[15:16]
	v_add_f64 v[8:9], v[8:9], v[13:14]
	v_mul_f64 v[15:16], v[19:20], 0.5
	v_mul_f64 v[19:20], v[21:22], 0.5
	;; [unrolled: 1-line block ×3, first 2 shown]
	s_waitcnt vmcnt(1)
	v_mul_f64 v[13:14], v[15:16], v[2:3]
	v_fma_f64 v[21:22], v[19:20], v[2:3], v[10:11]
	v_fma_f64 v[2:3], v[19:20], v[2:3], -v[10:11]
	v_fma_f64 v[23:24], v[8:9], 0.5, v[13:14]
	v_fma_f64 v[13:14], v[8:9], 0.5, -v[13:14]
	global_load_dwordx4 v[8:11], v[17:18], off offset:1872
	v_fma_f64 v[21:22], -v[0:1], v[15:16], v[21:22]
	v_fma_f64 v[2:3], -v[0:1], v[15:16], v[2:3]
	v_fma_f64 v[15:16], v[19:20], v[0:1], v[23:24]
	v_fma_f64 v[0:1], -v[19:20], v[0:1], v[13:14]
	ds_write2_b64 v25, v[15:16], v[21:22] offset1:1
	ds_write_b128 v12, v[0:3] offset:8112
	ds_read_b128 v[0:3], v128 offset:1248
	ds_read_b128 v[13:16], v12 offset:7488
	s_waitcnt lgkmcnt(0)
	v_add_f64 v[19:20], v[0:1], -v[13:14]
	v_add_f64 v[21:22], v[2:3], v[15:16]
	v_add_f64 v[2:3], v[2:3], -v[15:16]
	v_add_f64 v[0:1], v[0:1], v[13:14]
	v_mul_f64 v[15:16], v[19:20], 0.5
	v_mul_f64 v[19:20], v[21:22], 0.5
	;; [unrolled: 1-line block ×3, first 2 shown]
	s_waitcnt vmcnt(1)
	v_mul_f64 v[13:14], v[15:16], v[6:7]
	v_fma_f64 v[21:22], v[19:20], v[6:7], v[2:3]
	v_fma_f64 v[6:7], v[19:20], v[6:7], -v[2:3]
	v_fma_f64 v[23:24], v[0:1], 0.5, v[13:14]
	v_fma_f64 v[13:14], v[0:1], 0.5, -v[13:14]
	global_load_dwordx4 v[0:3], v[17:18], off offset:2496
	v_fma_f64 v[21:22], -v[4:5], v[15:16], v[21:22]
	v_fma_f64 v[6:7], -v[4:5], v[15:16], v[6:7]
	v_fma_f64 v[15:16], v[19:20], v[4:5], v[23:24]
	v_fma_f64 v[4:5], -v[19:20], v[4:5], v[13:14]
	ds_write2_b64 v128, v[15:16], v[21:22] offset0:156 offset1:157
	ds_write_b128 v12, v[4:7] offset:7488
	ds_read_b128 v[4:7], v128 offset:1872
	ds_read_b128 v[13:16], v12 offset:6864
	s_waitcnt lgkmcnt(0)
	v_add_f64 v[19:20], v[4:5], -v[13:14]
	v_add_f64 v[21:22], v[6:7], v[15:16]
	v_add_f64 v[6:7], v[6:7], -v[15:16]
	v_add_f64 v[4:5], v[4:5], v[13:14]
	v_mul_f64 v[15:16], v[19:20], 0.5
	v_mul_f64 v[19:20], v[21:22], 0.5
	;; [unrolled: 1-line block ×3, first 2 shown]
	s_waitcnt vmcnt(1)
	v_mul_f64 v[13:14], v[15:16], v[10:11]
	v_fma_f64 v[21:22], v[19:20], v[10:11], v[6:7]
	v_fma_f64 v[10:11], v[19:20], v[10:11], -v[6:7]
	v_fma_f64 v[23:24], v[4:5], 0.5, v[13:14]
	v_fma_f64 v[13:14], v[4:5], 0.5, -v[13:14]
	global_load_dwordx4 v[4:7], v[17:18], off offset:3120
	v_fma_f64 v[21:22], -v[8:9], v[15:16], v[21:22]
	v_fma_f64 v[10:11], -v[8:9], v[15:16], v[10:11]
	v_fma_f64 v[15:16], v[19:20], v[8:9], v[23:24]
	v_fma_f64 v[8:9], -v[19:20], v[8:9], v[13:14]
	ds_write2_b64 v128, v[15:16], v[21:22] offset0:234 offset1:235
	ds_write_b128 v12, v[8:11] offset:6864
	ds_read_b128 v[8:11], v128 offset:2496
	ds_read_b128 v[13:16], v12 offset:6240
	s_waitcnt lgkmcnt(0)
	v_add_f64 v[19:20], v[8:9], -v[13:14]
	v_add_f64 v[21:22], v[10:11], v[15:16]
	v_add_f64 v[10:11], v[10:11], -v[15:16]
	v_add_f64 v[8:9], v[8:9], v[13:14]
	v_mul_f64 v[15:16], v[19:20], 0.5
	v_mul_f64 v[19:20], v[21:22], 0.5
	;; [unrolled: 1-line block ×3, first 2 shown]
	s_waitcnt vmcnt(1)
	v_mul_f64 v[13:14], v[15:16], v[2:3]
	v_fma_f64 v[21:22], v[19:20], v[2:3], v[10:11]
	v_fma_f64 v[2:3], v[19:20], v[2:3], -v[10:11]
	v_fma_f64 v[23:24], v[8:9], 0.5, v[13:14]
	v_fma_f64 v[13:14], v[8:9], 0.5, -v[13:14]
	global_load_dwordx4 v[8:11], v[17:18], off offset:3744
	v_fma_f64 v[17:18], -v[0:1], v[15:16], v[21:22]
	v_fma_f64 v[2:3], -v[0:1], v[15:16], v[2:3]
	v_add_u32_e32 v21, 0x800, v128
	v_fma_f64 v[15:16], v[19:20], v[0:1], v[23:24]
	v_fma_f64 v[0:1], -v[19:20], v[0:1], v[13:14]
	ds_write2_b64 v21, v[15:16], v[17:18] offset0:56 offset1:57
	ds_write_b128 v12, v[0:3] offset:6240
	ds_read_b128 v[0:3], v128 offset:3120
	ds_read_b128 v[13:16], v12 offset:5616
	s_waitcnt lgkmcnt(0)
	v_add_f64 v[17:18], v[0:1], -v[13:14]
	v_add_f64 v[19:20], v[2:3], v[15:16]
	v_add_f64 v[2:3], v[2:3], -v[15:16]
	v_add_f64 v[0:1], v[0:1], v[13:14]
	v_mul_f64 v[15:16], v[17:18], 0.5
	v_mul_f64 v[17:18], v[19:20], 0.5
	;; [unrolled: 1-line block ×3, first 2 shown]
	s_waitcnt vmcnt(1)
	v_mul_f64 v[13:14], v[15:16], v[6:7]
	v_fma_f64 v[19:20], v[17:18], v[6:7], v[2:3]
	v_fma_f64 v[2:3], v[17:18], v[6:7], -v[2:3]
	v_fma_f64 v[6:7], v[0:1], 0.5, v[13:14]
	v_fma_f64 v[0:1], v[0:1], 0.5, -v[13:14]
	v_fma_f64 v[13:14], -v[4:5], v[15:16], v[19:20]
	v_fma_f64 v[2:3], -v[4:5], v[15:16], v[2:3]
	v_fma_f64 v[6:7], v[17:18], v[4:5], v[6:7]
	v_fma_f64 v[0:1], -v[17:18], v[4:5], v[0:1]
	ds_write2_b64 v21, v[6:7], v[13:14] offset0:134 offset1:135
	ds_write_b128 v12, v[0:3] offset:5616
	ds_read_b128 v[0:3], v128 offset:3744
	ds_read_b128 v[4:7], v12 offset:4992
	s_waitcnt lgkmcnt(0)
	v_add_f64 v[13:14], v[0:1], -v[4:5]
	v_add_f64 v[15:16], v[2:3], v[6:7]
	v_add_f64 v[2:3], v[2:3], -v[6:7]
	v_add_f64 v[0:1], v[0:1], v[4:5]
	v_mul_f64 v[6:7], v[13:14], 0.5
	v_mul_f64 v[13:14], v[15:16], 0.5
	;; [unrolled: 1-line block ×3, first 2 shown]
	s_waitcnt vmcnt(0)
	v_mul_f64 v[4:5], v[6:7], v[10:11]
	v_fma_f64 v[15:16], v[13:14], v[10:11], v[2:3]
	v_fma_f64 v[2:3], v[13:14], v[10:11], -v[2:3]
	v_fma_f64 v[10:11], v[0:1], 0.5, v[4:5]
	v_fma_f64 v[0:1], v[0:1], 0.5, -v[4:5]
	v_fma_f64 v[4:5], -v[8:9], v[6:7], v[15:16]
	v_fma_f64 v[2:3], -v[8:9], v[6:7], v[2:3]
	v_fma_f64 v[6:7], v[13:14], v[8:9], v[10:11]
	v_fma_f64 v[0:1], -v[13:14], v[8:9], v[0:1]
	ds_write2_b64 v21, v[6:7], v[4:5] offset0:212 offset1:213
	ds_write_b128 v12, v[0:3] offset:4992
	s_waitcnt lgkmcnt(0)
	s_barrier
	s_and_saveexec_b64 s[0:1], vcc
	s_cbranch_execz .LBB0_25
; %bb.23:
	v_mul_lo_u32 v0, s3, v64
	v_mul_lo_u32 v3, s2, v65
	v_mad_u64_u32 v[1:2], s[0:1], s2, v64, 0
	v_mov_b32_e32 v7, s11
	v_mov_b32_e32 v63, 0
	v_add3_u32 v2, v2, v3, v0
	v_lshlrev_b64 v[1:2], 4, v[1:2]
	v_lshl_add_u32 v0, v62, 4, v127
	v_add_co_u32_e32 v1, vcc, s10, v1
	v_addc_co_u32_e32 v9, vcc, v7, v2, vcc
	v_lshlrev_b64 v[7:8], 4, v[60:61]
	ds_read_b128 v[3:6], v0
	v_add_co_u32_e32 v2, vcc, v1, v7
	v_addc_co_u32_e32 v1, vcc, v9, v8, vcc
	v_lshlrev_b64 v[7:8], 4, v[62:63]
	v_add_co_u32_e32 v11, vcc, v2, v7
	v_addc_co_u32_e32 v12, vcc, v1, v8, vcc
	ds_read_b128 v[7:10], v0 offset:624
	s_waitcnt lgkmcnt(1)
	global_store_dwordx4 v[11:12], v[3:6], off
	s_nop 0
	v_add_u32_e32 v3, 39, v62
	v_mov_b32_e32 v4, v63
	v_lshlrev_b64 v[3:4], 4, v[3:4]
	v_add_co_u32_e32 v3, vcc, v2, v3
	v_addc_co_u32_e32 v4, vcc, v1, v4, vcc
	s_waitcnt lgkmcnt(0)
	global_store_dwordx4 v[3:4], v[7:10], off
	ds_read_b128 v[3:6], v0 offset:1248
	v_add_u32_e32 v7, 0x4e, v62
	v_mov_b32_e32 v8, v63
	v_lshlrev_b64 v[7:8], 4, v[7:8]
	v_add_co_u32_e32 v11, vcc, v2, v7
	v_addc_co_u32_e32 v12, vcc, v1, v8, vcc
	ds_read_b128 v[7:10], v0 offset:1872
	s_waitcnt lgkmcnt(1)
	global_store_dwordx4 v[11:12], v[3:6], off
	s_nop 0
	v_add_u32_e32 v3, 0x75, v62
	v_mov_b32_e32 v4, v63
	v_lshlrev_b64 v[3:4], 4, v[3:4]
	v_add_co_u32_e32 v3, vcc, v2, v3
	v_addc_co_u32_e32 v4, vcc, v1, v4, vcc
	s_waitcnt lgkmcnt(0)
	global_store_dwordx4 v[3:4], v[7:10], off
	ds_read_b128 v[3:6], v0 offset:2496
	v_add_u32_e32 v7, 0x9c, v62
	v_mov_b32_e32 v8, v63
	;; [unrolled: 17-line block ×6, first 2 shown]
	v_lshlrev_b64 v[7:8], 4, v[7:8]
	v_add_co_u32_e32 v11, vcc, v2, v7
	v_addc_co_u32_e32 v12, vcc, v1, v8, vcc
	ds_read_b128 v[7:10], v0 offset:8112
	s_waitcnt lgkmcnt(1)
	global_store_dwordx4 v[11:12], v[3:6], off
	s_nop 0
	v_add_u32_e32 v3, 0x1fb, v62
	v_mov_b32_e32 v4, v63
	v_lshlrev_b64 v[3:4], 4, v[3:4]
	v_add_co_u32_e32 v3, vcc, v2, v3
	v_addc_co_u32_e32 v4, vcc, v1, v4, vcc
	v_cmp_eq_u32_e32 vcc, 38, v62
	s_waitcnt lgkmcnt(0)
	global_store_dwordx4 v[3:4], v[7:10], off
	s_and_b64 exec, exec, vcc
	s_cbranch_execz .LBB0_25
; %bb.24:
	ds_read_b128 v[3:6], v0 offset:8128
	v_add_co_u32_e32 v0, vcc, 0x2000, v2
	v_addc_co_u32_e32 v1, vcc, 0, v1, vcc
	s_waitcnt lgkmcnt(0)
	global_store_dwordx4 v[0:1], v[3:6], off offset:544
.LBB0_25:
	s_endpgm
	.section	.rodata,"a",@progbits
	.p2align	6, 0x0
	.amdhsa_kernel fft_rtc_fwd_len546_factors_13_3_7_2_wgs_117_tpt_39_halfLds_dp_op_CI_CI_unitstride_sbrr_R2C_dirReg
		.amdhsa_group_segment_fixed_size 0
		.amdhsa_private_segment_fixed_size 0
		.amdhsa_kernarg_size 104
		.amdhsa_user_sgpr_count 6
		.amdhsa_user_sgpr_private_segment_buffer 1
		.amdhsa_user_sgpr_dispatch_ptr 0
		.amdhsa_user_sgpr_queue_ptr 0
		.amdhsa_user_sgpr_kernarg_segment_ptr 1
		.amdhsa_user_sgpr_dispatch_id 0
		.amdhsa_user_sgpr_flat_scratch_init 0
		.amdhsa_user_sgpr_private_segment_size 0
		.amdhsa_uses_dynamic_stack 0
		.amdhsa_system_sgpr_private_segment_wavefront_offset 0
		.amdhsa_system_sgpr_workgroup_id_x 1
		.amdhsa_system_sgpr_workgroup_id_y 0
		.amdhsa_system_sgpr_workgroup_id_z 0
		.amdhsa_system_sgpr_workgroup_info 0
		.amdhsa_system_vgpr_workitem_id 0
		.amdhsa_next_free_vgpr 199
		.amdhsa_next_free_sgpr 48
		.amdhsa_reserve_vcc 1
		.amdhsa_reserve_flat_scratch 0
		.amdhsa_float_round_mode_32 0
		.amdhsa_float_round_mode_16_64 0
		.amdhsa_float_denorm_mode_32 3
		.amdhsa_float_denorm_mode_16_64 3
		.amdhsa_dx10_clamp 1
		.amdhsa_ieee_mode 1
		.amdhsa_fp16_overflow 0
		.amdhsa_exception_fp_ieee_invalid_op 0
		.amdhsa_exception_fp_denorm_src 0
		.amdhsa_exception_fp_ieee_div_zero 0
		.amdhsa_exception_fp_ieee_overflow 0
		.amdhsa_exception_fp_ieee_underflow 0
		.amdhsa_exception_fp_ieee_inexact 0
		.amdhsa_exception_int_div_zero 0
	.end_amdhsa_kernel
	.text
.Lfunc_end0:
	.size	fft_rtc_fwd_len546_factors_13_3_7_2_wgs_117_tpt_39_halfLds_dp_op_CI_CI_unitstride_sbrr_R2C_dirReg, .Lfunc_end0-fft_rtc_fwd_len546_factors_13_3_7_2_wgs_117_tpt_39_halfLds_dp_op_CI_CI_unitstride_sbrr_R2C_dirReg
                                        ; -- End function
	.section	.AMDGPU.csdata,"",@progbits
; Kernel info:
; codeLenInByte = 16000
; NumSgprs: 52
; NumVgprs: 199
; ScratchSize: 0
; MemoryBound: 0
; FloatMode: 240
; IeeeMode: 1
; LDSByteSize: 0 bytes/workgroup (compile time only)
; SGPRBlocks: 6
; VGPRBlocks: 49
; NumSGPRsForWavesPerEU: 52
; NumVGPRsForWavesPerEU: 199
; Occupancy: 1
; WaveLimiterHint : 1
; COMPUTE_PGM_RSRC2:SCRATCH_EN: 0
; COMPUTE_PGM_RSRC2:USER_SGPR: 6
; COMPUTE_PGM_RSRC2:TRAP_HANDLER: 0
; COMPUTE_PGM_RSRC2:TGID_X_EN: 1
; COMPUTE_PGM_RSRC2:TGID_Y_EN: 0
; COMPUTE_PGM_RSRC2:TGID_Z_EN: 0
; COMPUTE_PGM_RSRC2:TIDIG_COMP_CNT: 0
	.type	__hip_cuid_bf2c677bcffd9f32,@object ; @__hip_cuid_bf2c677bcffd9f32
	.section	.bss,"aw",@nobits
	.globl	__hip_cuid_bf2c677bcffd9f32
__hip_cuid_bf2c677bcffd9f32:
	.byte	0                               ; 0x0
	.size	__hip_cuid_bf2c677bcffd9f32, 1

	.ident	"AMD clang version 19.0.0git (https://github.com/RadeonOpenCompute/llvm-project roc-6.4.0 25133 c7fe45cf4b819c5991fe208aaa96edf142730f1d)"
	.section	".note.GNU-stack","",@progbits
	.addrsig
	.addrsig_sym __hip_cuid_bf2c677bcffd9f32
	.amdgpu_metadata
---
amdhsa.kernels:
  - .args:
      - .actual_access:  read_only
        .address_space:  global
        .offset:         0
        .size:           8
        .value_kind:     global_buffer
      - .offset:         8
        .size:           8
        .value_kind:     by_value
      - .actual_access:  read_only
        .address_space:  global
        .offset:         16
        .size:           8
        .value_kind:     global_buffer
      - .actual_access:  read_only
        .address_space:  global
        .offset:         24
        .size:           8
        .value_kind:     global_buffer
      - .actual_access:  read_only
        .address_space:  global
        .offset:         32
        .size:           8
        .value_kind:     global_buffer
      - .offset:         40
        .size:           8
        .value_kind:     by_value
      - .actual_access:  read_only
        .address_space:  global
        .offset:         48
        .size:           8
        .value_kind:     global_buffer
      - .actual_access:  read_only
        .address_space:  global
        .offset:         56
        .size:           8
        .value_kind:     global_buffer
      - .offset:         64
        .size:           4
        .value_kind:     by_value
      - .actual_access:  read_only
        .address_space:  global
        .offset:         72
        .size:           8
        .value_kind:     global_buffer
      - .actual_access:  read_only
        .address_space:  global
        .offset:         80
        .size:           8
        .value_kind:     global_buffer
      - .actual_access:  read_only
        .address_space:  global
        .offset:         88
        .size:           8
        .value_kind:     global_buffer
      - .actual_access:  write_only
        .address_space:  global
        .offset:         96
        .size:           8
        .value_kind:     global_buffer
    .group_segment_fixed_size: 0
    .kernarg_segment_align: 8
    .kernarg_segment_size: 104
    .language:       OpenCL C
    .language_version:
      - 2
      - 0
    .max_flat_workgroup_size: 117
    .name:           fft_rtc_fwd_len546_factors_13_3_7_2_wgs_117_tpt_39_halfLds_dp_op_CI_CI_unitstride_sbrr_R2C_dirReg
    .private_segment_fixed_size: 0
    .sgpr_count:     52
    .sgpr_spill_count: 0
    .symbol:         fft_rtc_fwd_len546_factors_13_3_7_2_wgs_117_tpt_39_halfLds_dp_op_CI_CI_unitstride_sbrr_R2C_dirReg.kd
    .uniform_work_group_size: 1
    .uses_dynamic_stack: false
    .vgpr_count:     199
    .vgpr_spill_count: 0
    .wavefront_size: 64
amdhsa.target:   amdgcn-amd-amdhsa--gfx906
amdhsa.version:
  - 1
  - 2
...

	.end_amdgpu_metadata
